;; amdgpu-corpus repo=ROCm/rocFFT kind=compiled arch=gfx950 opt=O3
	.text
	.amdgcn_target "amdgcn-amd-amdhsa--gfx950"
	.amdhsa_code_object_version 6
	.protected	bluestein_single_back_len1020_dim1_sp_op_CI_CI ; -- Begin function bluestein_single_back_len1020_dim1_sp_op_CI_CI
	.globl	bluestein_single_back_len1020_dim1_sp_op_CI_CI
	.p2align	8
	.type	bluestein_single_back_len1020_dim1_sp_op_CI_CI,@function
bluestein_single_back_len1020_dim1_sp_op_CI_CI: ; @bluestein_single_back_len1020_dim1_sp_op_CI_CI
; %bb.0:
	s_load_dwordx4 s[12:15], s[0:1], 0x28
	v_mul_u32_u24_e32 v1, 0x3c4, v0
	v_lshrrev_b32_e32 v2, 16, v1
	v_mad_u64_u32 v[130:131], s[2:3], s2, 3, v[2:3]
	v_mov_b32_e32 v139, 0
	v_mov_b32_e32 v131, v139
	s_waitcnt lgkmcnt(0)
	v_cmp_gt_u64_e32 vcc, s[12:13], v[130:131]
	s_and_saveexec_b64 s[2:3], vcc
	s_cbranch_execz .LBB0_31
; %bb.1:
	s_load_dwordx4 s[4:7], s[0:1], 0x18
	s_load_dwordx2 s[16:17], s[0:1], 0x0
	v_mul_lo_u16_e32 v1, 0x44, v2
	v_sub_u16_e32 v138, v0, v1
	v_mov_b32_e32 v4, s14
	s_waitcnt lgkmcnt(0)
	s_load_dwordx4 s[8:11], s[4:5], 0x0
	v_mov_b32_e32 v5, s15
	s_load_dwordx2 s[12:13], s[0:1], 0x38
	s_waitcnt lgkmcnt(0)
	v_mad_u64_u32 v[0:1], s[2:3], s10, v130, 0
	v_mov_b32_e32 v2, v1
	v_mad_u64_u32 v[2:3], s[2:3], s11, v130, v[2:3]
	v_mov_b32_e32 v1, v2
	v_mad_u64_u32 v[2:3], s[2:3], s8, v138, 0
	v_mov_b32_e32 v6, v3
	v_mad_u64_u32 v[6:7], s[2:3], s9, v138, v[6:7]
	s_mul_i32 s2, s9, 0x1fe
	s_mul_hi_u32 s3, s8, 0x1fe
	v_mov_b32_e32 v3, v6
	v_lshl_add_u64 v[0:1], v[0:1], 3, v[4:5]
	s_add_i32 s3, s3, s2
	s_mul_i32 s2, s8, 0x1fe
	v_lshl_add_u64 v[0:1], v[2:3], 3, v[0:1]
	v_lshlrev_b32_e32 v2, 3, v138
	s_lshl_b64 s[4:5], s[2:3], 3
	s_mul_hi_u32 s10, s8, 0xfffffe46
	v_lshl_add_u64 v[4:5], v[0:1], 0, s[4:5]
	global_load_dwordx2 v[6:7], v[0:1], off
	global_load_dwordx2 v[8:9], v[4:5], off
	global_load_dwordx2 v[44:45], v2, s[16:17] offset:4080
	s_mulk_i32 s9, 0xfe46
	s_sub_i32 s10, s10, s8
	global_load_dwordx2 v[46:47], v2, s[16:17]
	global_load_dwordx2 v[42:43], v2, s[16:17] offset:544
	v_mov_b32_e32 v3, v139
	s_add_i32 s15, s10, s9
	s_mul_i32 s14, s8, 0xfffffe46
	v_lshl_add_u64 v[122:123], s[16:17], 0, v[2:3]
	s_lshl_b64 s[8:9], s[14:15], 3
	s_movk_i32 s10, 0x1000
	v_lshl_add_u64 v[0:1], v[4:5], 0, s[8:9]
	v_add_co_u32_e32 v14, vcc, s10, v122
	v_lshl_add_u64 v[4:5], v[0:1], 0, s[4:5]
	global_load_dwordx2 v[10:11], v[0:1], off
	global_load_dwordx2 v[12:13], v[4:5], off
	v_addc_co_u32_e32 v15, vcc, 0, v123, vcc
	global_load_dwordx2 v[40:41], v[14:15], off offset:528
	v_lshl_add_u64 v[0:1], v[4:5], 0, s[8:9]
	global_load_dwordx2 v[4:5], v[0:1], off
	global_load_dwordx2 v[38:39], v2, s[16:17] offset:1088
	v_lshl_add_u64 v[0:1], v[0:1], 0, s[4:5]
	global_load_dwordx2 v[16:17], v[0:1], off
	global_load_dwordx2 v[36:37], v[14:15], off offset:1072
	v_lshl_add_u64 v[0:1], v[0:1], 0, s[8:9]
	global_load_dwordx2 v[18:19], v[0:1], off
	global_load_dwordx2 v[34:35], v2, s[16:17] offset:1632
	v_lshl_add_u64 v[0:1], v[0:1], 0, s[4:5]
	global_load_dwordx2 v[20:21], v[0:1], off
	;; [unrolled: 6-line block ×4, first 2 shown]
	global_load_dwordx2 v[128:129], v[14:15], off offset:2704
	v_lshl_add_u64 v[0:1], v[0:1], 0, s[8:9]
	global_load_dwordx2 v[30:31], v[0:1], off
	global_load_dwordx2 v[126:127], v2, s[16:17] offset:3264
	v_lshl_add_u64 v[0:1], v[0:1], 0, s[4:5]
	global_load_dwordx2 v[124:125], v[14:15], off offset:3248
	global_load_dwordx2 v[32:33], v[0:1], off
	s_mov_b32 s4, 0xaaaaaaab
	v_mul_hi_u32 v3, v130, s4
	v_lshrrev_b32_e32 v3, 1, v3
	v_lshl_add_u32 v3, v3, 1, v3
	v_sub_u32_e32 v3, v130, v3
	v_mul_u32_u24_e32 v3, 0x3fc, v3
	v_lshlrev_b32_e32 v108, 3, v3
	v_add_u32_e32 v131, v2, v108
	s_load_dwordx4 s[8:11], s[6:7], 0x0
	v_cmp_gt_u16_e64 s[4:5], 34, v138
	s_waitcnt vmcnt(25)
	v_accvgpr_write_b32 a26, v44
	v_accvgpr_write_b32 a27, v45
	s_waitcnt vmcnt(24)
	v_mul_f32_e32 v2, v7, v47
	v_mul_f32_e32 v3, v6, v47
	v_fmac_f32_e32 v2, v6, v46
	v_fma_f32 v3, v7, v46, -v3
	v_mul_f32_e32 v6, v9, v45
	v_mul_f32_e32 v7, v8, v45
	v_fmac_f32_e32 v6, v8, v44
	v_fma_f32 v7, v9, v44, -v7
	ds_write_b64 v131, v[6:7] offset:4080
	v_accvgpr_write_b32 a28, v46
	s_waitcnt vmcnt(23)
	v_accvgpr_write_b32 a24, v42
	s_waitcnt vmcnt(22)
	v_mul_f32_e32 v6, v11, v43
	v_mul_f32_e32 v7, v10, v43
	v_fmac_f32_e32 v6, v10, v42
	v_fma_f32 v7, v11, v42, -v7
	ds_write2_b64 v131, v[2:3], v[6:7] offset1:68
	s_waitcnt vmcnt(20)
	v_mul_f32_e32 v2, v12, v41
	v_fma_f32 v7, v13, v40, -v2
	s_waitcnt vmcnt(18)
	v_mul_f32_e32 v8, v5, v39
	v_mul_f32_e32 v2, v4, v39
	;; [unrolled: 1-line block ×3, first 2 shown]
	v_fmac_f32_e32 v8, v4, v38
	v_fma_f32 v9, v5, v38, -v2
	s_waitcnt vmcnt(16)
	v_mul_f32_e32 v4, v17, v37
	v_mul_f32_e32 v2, v16, v37
	v_fmac_f32_e32 v6, v12, v40
	v_fmac_f32_e32 v4, v16, v36
	v_fma_f32 v5, v17, v36, -v2
	v_add_u32_e32 v2, 0x1000, v131
	ds_write2_b64 v2, v[6:7], v[4:5] offset0:66 offset1:134
	s_waitcnt vmcnt(14)
	v_mul_f32_e32 v4, v19, v35
	v_mul_f32_e32 v3, v18, v35
	v_fmac_f32_e32 v4, v18, v34
	v_fma_f32 v5, v19, v34, -v3
	s_waitcnt vmcnt(12)
	v_mul_f32_e32 v3, v20, v141
	ds_write2_b64 v131, v[8:9], v[4:5] offset0:136 offset1:204
	v_fma_f32 v5, v21, v140, -v3
	s_waitcnt vmcnt(10)
	v_mul_f32_e32 v3, v22, v137
	v_mul_f32_e32 v4, v21, v141
	v_fma_f32 v7, v23, v136, -v3
	s_waitcnt vmcnt(8)
	v_mul_f32_e32 v8, v25, v135
	v_mul_f32_e32 v3, v24, v135
	v_fmac_f32_e32 v4, v20, v140
	v_fmac_f32_e32 v8, v24, v134
	v_fma_f32 v9, v25, v134, -v3
	v_add_u32_e32 v3, 0x1400, v131
	v_mul_f32_e32 v6, v23, v137
	ds_write2_b64 v3, v[4:5], v[8:9] offset0:74 offset1:142
	s_waitcnt vmcnt(6)
	v_mul_f32_e32 v4, v27, v133
	v_mul_f32_e32 v5, v26, v133
	v_fmac_f32_e32 v6, v22, v136
	v_fmac_f32_e32 v4, v26, v132
	v_fma_f32 v5, v27, v132, -v5
	v_add_u32_e32 v8, 0x800, v131
	ds_write2_b64 v8, v[6:7], v[4:5] offset0:16 offset1:84
	s_waitcnt vmcnt(2)
	v_mul_f32_e32 v6, v31, v127
	v_mul_f32_e32 v7, v30, v127
	v_fmac_f32_e32 v6, v30, v126
	v_fma_f32 v7, v31, v126, -v7
	v_accvgpr_write_b32 a22, v40
	v_accvgpr_write_b32 a20, v38
	;; [unrolled: 1-line block ×4, first 2 shown]
	v_mul_f32_e32 v4, v29, v129
	v_mul_f32_e32 v5, v28, v129
	ds_write_b64 v131, v[6:7] offset:3264
	s_waitcnt vmcnt(0)
	v_mul_f32_e32 v6, v33, v125
	v_mul_f32_e32 v7, v32, v125
	v_accvgpr_write_b32 a29, v47
	v_accvgpr_write_b32 a25, v43
	;; [unrolled: 1-line block ×6, first 2 shown]
	v_fmac_f32_e32 v4, v28, v128
	v_fma_f32 v5, v29, v128, -v5
	v_fmac_f32_e32 v6, v32, v124
	v_fma_f32 v7, v33, v124, -v7
	v_add_u32_e32 v9, 0x1800, v131
	ds_write2_b64 v9, v[4:5], v[6:7] offset0:82 offset1:150
	s_and_saveexec_b64 s[6:7], s[4:5]
	s_cbranch_execz .LBB0_3
; %bb.2:
	v_lshl_add_u64 v[0:1], s[14:15], 3, v[0:1]
	v_add_co_u32_e32 v10, vcc, 0x1000, v122
	global_load_dwordx2 v[4:5], v[0:1], off
	global_load_dwordx2 v[6:7], v[122:123], off offset:3808
	v_lshl_add_u64 v[0:1], s[2:3], 3, v[0:1]
	v_addc_co_u32_e32 v11, vcc, 0, v123, vcc
	global_load_dwordx2 v[0:1], v[0:1], off
	s_waitcnt vmcnt(1)
	v_mul_f32_e32 v12, v5, v7
	global_load_dwordx2 v[10:11], v[10:11], off offset:3792
	v_mul_f32_e32 v7, v4, v7
	v_fmac_f32_e32 v12, v4, v6
	v_fma_f32 v13, v5, v6, -v7
	ds_write_b64 v131, v[12:13] offset:3808
	s_waitcnt vmcnt(0)
	v_mul_f32_e32 v4, v1, v11
	v_mul_f32_e32 v5, v0, v11
	v_fmac_f32_e32 v4, v0, v10
	v_fma_f32 v5, v1, v10, -v5
	ds_write_b64 v131, v[4:5] offset:7888
.LBB0_3:
	s_or_b64 exec, exec, s[6:7]
	s_waitcnt lgkmcnt(0)
	s_barrier
	ds_read2_b64 v[30:33], v131 offset1:68
	ds_read2_b64 v[4:7], v8 offset0:152 offset1:254
	ds_read2_b64 v[26:29], v2 offset0:66 offset1:134
	ds_read2_b64 v[20:23], v131 offset0:136 offset1:204
	ds_read2_b64 v[16:19], v3 offset0:74 offset1:142
	ds_read2_b64 v[12:15], v8 offset0:16 offset1:84
	ds_read2_b64 v[8:11], v9 offset0:82 offset1:150
                                        ; implicit-def: $vgpr36
                                        ; implicit-def: $vgpr38
	s_and_saveexec_b64 s[2:3], s[4:5]
	s_cbranch_execz .LBB0_5
; %bb.4:
	ds_read_b64 v[36:37], v131 offset:3808
	ds_read_b64 v[38:39], v131 offset:7888
.LBB0_5:
	s_or_b64 exec, exec, s[2:3]
	s_mov_b64 s[2:3], 0x44
	v_lshl_add_u64 v[72:73], v[138:139], 0, s[2:3]
	s_mov_b64 s[2:3], 0x88
	v_lshl_add_u64 v[64:65], v[138:139], 0, s[2:3]
	s_mov_b64 s[2:3], 0xcc
	s_waitcnt lgkmcnt(5)
	v_pk_add_f32 v[2:3], v[30:31], v[6:7] neg_lo:[0,1] neg_hi:[0,1]
	s_waitcnt lgkmcnt(4)
	v_pk_add_f32 v[26:27], v[32:33], v[26:27] neg_lo:[0,1] neg_hi:[0,1]
	;; [unrolled: 2-line block ×4, first 2 shown]
	v_lshl_add_u64 v[68:69], v[138:139], 0, s[2:3]
	s_mov_b64 s[2:3], 0x110
	v_pk_fma_f32 v[0:1], v[30:31], 2.0, v[2:3] op_sel_hi:[1,0,1] neg_lo:[0,0,1] neg_hi:[0,0,1]
	v_pk_fma_f32 v[24:25], v[32:33], 2.0, v[26:27] op_sel_hi:[1,0,1] neg_lo:[0,0,1] neg_hi:[0,0,1]
	;; [unrolled: 1-line block ×3, first 2 shown]
	v_pk_add_f32 v[42:43], v[22:23], v[16:17] neg_lo:[0,1] neg_hi:[0,1]
	v_pk_fma_f32 v[56:57], v[4:5], 2.0, v[58:59] op_sel_hi:[1,0,1] neg_lo:[0,0,1] neg_hi:[0,0,1]
	v_lshl_add_u32 v111, v138, 4, v108
	v_lshl_add_u32 v113, v72, 4, v108
	;; [unrolled: 1-line block ×3, first 2 shown]
	s_load_dwordx2 s[0:1], s[0:1], 0x8
	v_lshl_add_u64 v[66:67], v[138:139], 0, s[2:3]
	s_mov_b64 s[2:3], 0x154
	v_pk_fma_f32 v[40:41], v[22:23], 2.0, v[42:43] op_sel_hi:[1,0,1] neg_lo:[0,0,1] neg_hi:[0,0,1]
	v_pk_add_f32 v[50:51], v[12:13], v[18:19] neg_lo:[0,1] neg_hi:[0,1]
	s_waitcnt lgkmcnt(0)
	s_barrier
	ds_write_b128 v111, v[0:3]
	ds_write_b128 v113, v[24:27]
	v_accvgpr_write_b32 a0, v4
	ds_write_b128 v4, v[32:35]
	v_lshl_add_u32 v4, v68, 4, v108
	v_lshl_add_u64 v[74:75], v[138:139], 0, s[2:3]
	s_mov_b64 s[2:3], 0x198
	v_pk_fma_f32 v[48:49], v[12:13], 2.0, v[50:51] op_sel_hi:[1,0,1] neg_lo:[0,0,1] neg_hi:[0,0,1]
	v_pk_add_f32 v[54:55], v[14:15], v[8:9] neg_lo:[0,1] neg_hi:[0,1]
	v_accvgpr_write_b32 a1, v4
	ds_write_b128 v4, v[40:43]
	v_lshl_add_u32 v4, v66, 4, v108
	v_lshl_add_u64 v[70:71], v[138:139], 0, s[2:3]
	s_mov_b64 s[2:3], 0x1dc
	v_pk_fma_f32 v[52:53], v[14:15], 2.0, v[54:55] op_sel_hi:[1,0,1] neg_lo:[0,0,1] neg_hi:[0,0,1]
	v_accvgpr_write_b32 a2, v4
	ds_write_b128 v4, v[48:51]
	v_lshl_add_u32 v4, v74, 4, v108
	v_lshl_add_u64 v[76:77], v[138:139], 0, s[2:3]
	v_pk_add_f32 v[62:63], v[36:37], v[38:39] neg_lo:[0,1] neg_hi:[0,1]
	v_accvgpr_write_b32 a3, v4
	ds_write_b128 v4, v[52:55]
	v_lshl_add_u32 v4, v70, 4, v108
	v_pk_fma_f32 v[60:61], v[36:37], 2.0, v[62:63] op_sel_hi:[1,0,1] neg_lo:[0,0,1] neg_hi:[0,0,1]
	v_accvgpr_write_b32 a4, v4
	v_lshl_add_u32 v110, v76, 4, v108
	ds_write_b128 v4, v[56:59]
	s_and_saveexec_b64 s[2:3], s[4:5]
	s_cbranch_execz .LBB0_7
; %bb.6:
	ds_write_b128 v110, v[60:63]
.LBB0_7:
	s_or_b64 exec, exec, s[2:3]
	v_cmp_gt_u16_e64 s[2:3], 60, v138
	s_waitcnt lgkmcnt(0)
	s_barrier
	s_waitcnt lgkmcnt(0)
                                        ; implicit-def: $vgpr82
                                        ; implicit-def: $vgpr78
	s_and_saveexec_b64 s[6:7], s[2:3]
	s_cbranch_execz .LBB0_9
; %bb.8:
	v_add_u32_e32 v4, 0x400, v131
	ds_read2_b64 v[0:3], v131 offset1:60
	ds_read2_b64 v[24:27], v131 offset0:120 offset1:180
	ds_read2_b64 v[32:35], v4 offset0:112 offset1:172
	v_add_u32_e32 v4, 0x800, v131
	ds_read2_b64 v[40:43], v4 offset0:104 offset1:164
	v_add_u32_e32 v4, 0xc00, v131
	;; [unrolled: 2-line block ×5, first 2 shown]
	ds_read_b64 v[82:83], v131 offset:7680
	ds_read2_b64 v[60:63], v4 offset0:72 offset1:132
	s_waitcnt lgkmcnt(1)
	v_mov_b32_e32 v78, v83
.LBB0_9:
	s_or_b64 exec, exec, s[6:7]
	v_and_b32_e32 v112, 1, v138
	v_lshlrev_b32_e32 v65, 7, v112
	global_load_dwordx4 v[36:39], v65, s[0:1]
	global_load_dwordx4 v[28:31], v65, s[0:1] offset:16
	global_load_dwordx4 v[8:11], v65, s[0:1] offset:32
	;; [unrolled: 1-line block ×7, first 2 shown]
	s_mov_b32 s18, 0xbeb8f4ab
	s_mov_b32 s6, 0x3f6eb680
	;; [unrolled: 1-line block ×22, first 2 shown]
	v_lshrrev_b32_e32 v65, 1, v138
	v_accvgpr_write_b32 a10, v65
	s_waitcnt lgkmcnt(0)
	s_barrier
	s_waitcnt vmcnt(7)
	v_pk_mul_f32 v[80:81], v[24:25], v[38:39] op_sel:[1,0]
	s_waitcnt vmcnt(6)
	v_pk_mul_f32 v[86:87], v[26:27], v[28:29] op_sel:[1,1] op_sel_hi:[1,0]
	v_pk_mul_f32 v[88:89], v[32:33], v[30:31] op_sel:[1,0]
	s_waitcnt vmcnt(5)
	v_pk_mul_f32 v[90:91], v[34:35], v[8:9] op_sel:[1,0]
	v_pk_mul_f32 v[94:95], v[40:41], v[10:11] op_sel:[1,0]
	s_waitcnt vmcnt(4)
	v_pk_mul_f32 v[96:97], v[42:43], v[4:5] op_sel:[1,0]
	;; [unrolled: 3-line block ×4, first 2 shown]
	s_waitcnt vmcnt(0)
	v_pk_mul_f32 v[146:147], v[62:63], v[44:45] op_sel:[1,0]
	v_pk_mul_f32 v[148:149], v[60:61], v[14:15] op_sel:[1,0]
	v_pk_mul_f32 v[150:151], v[78:79], v[46:47] op_sel_hi:[0,1]
	v_pk_mul_f32 v[152:153], v[2:3], v[36:37] op_sel:[1,0]
	v_pk_mul_f32 v[142:143], v[56:57], v[18:19] op_sel:[1,0]
	;; [unrolled: 1-line block ×3, first 2 shown]
	v_pk_fma_f32 v[78:79], v[24:25], v[38:39], v[80:81] op_sel:[0,0,1] op_sel_hi:[1,1,0] neg_lo:[0,0,1] neg_hi:[0,0,1]
	v_pk_fma_f32 v[24:25], v[24:25], v[38:39], v[80:81] op_sel:[0,0,1] op_sel_hi:[0,1,0]
	v_pk_fma_f32 v[84:85], v[26:27], v[28:29], v[86:87] neg_lo:[0,0,1] neg_hi:[0,0,1]
	v_pk_fma_f32 v[26:27], v[26:27], v[28:29], v[86:87] op_sel_hi:[0,1,1]
	v_pk_fma_f32 v[92:93], v[32:33], v[30:31], v[88:89] op_sel:[0,0,1] op_sel_hi:[1,1,0] neg_lo:[0,0,1] neg_hi:[0,0,1]
	v_pk_fma_f32 v[32:33], v[32:33], v[30:31], v[88:89] op_sel:[0,0,1] op_sel_hi:[0,1,0]
	v_pk_fma_f32 v[98:99], v[34:35], v[8:9], v[90:91] op_sel:[0,0,1] op_sel_hi:[1,1,0] neg_lo:[0,0,1] neg_hi:[0,0,1]
	v_pk_fma_f32 v[34:35], v[34:35], v[8:9], v[90:91] op_sel:[0,0,1] op_sel_hi:[0,1,0]
	;; [unrolled: 2-line block ×14, first 2 shown]
	v_mov_b32_e32 v149, v3
	v_mov_b32_e32 v147, v83
	;; [unrolled: 1-line block ×5, first 2 shown]
	v_pk_add_f32 v[58:59], v[148:149], v[146:147] neg_lo:[0,1] neg_hi:[0,1]
	v_mov_b32_e32 v85, v27
	v_pk_add_f32 v[24:25], v[148:149], v[146:147]
	v_pk_add_f32 v[82:83], v[78:79], v[104:105] neg_lo:[0,1] neg_hi:[0,1]
	v_pk_mul_f32 v[26:27], v[58:59], s[18:19] op_sel:[1,0] op_sel_hi:[0,0]
	v_mov_b32_e32 v93, v33
	v_pk_add_f32 v[2:3], v[78:79], v[104:105]
	v_pk_mul_f32 v[32:33], v[82:83], s[22:23] op_sel:[1,0] op_sel_hi:[0,0]
	v_pk_fma_f32 v[152:153], v[24:25], s[6:7], v[26:27] op_sel_hi:[1,0,1]
	v_pk_fma_f32 v[154:155], v[24:25], s[6:7], v[26:27] op_sel_hi:[1,0,1] neg_lo:[0,0,1] neg_hi:[0,0,1]
	v_mov_b32_e32 v107, v61
	v_pk_fma_f32 v[150:151], v[2:3], s[14:15], v[32:33] op_sel_hi:[1,0,1]
	v_mov_b32_e32 v26, v152
	v_mov_b32_e32 v27, v155
	v_pk_fma_f32 v[156:157], v[2:3], s[14:15], v[32:33] op_sel_hi:[1,0,1] neg_lo:[0,0,1] neg_hi:[0,0,1]
	v_mov_b32_e32 v101, v89
	v_pk_add_f32 v[26:27], v[0:1], v[26:27]
	v_mov_b32_e32 v32, v150
	v_mov_b32_e32 v33, v157
	v_pk_add_f32 v[88:89], v[84:85], v[106:107] neg_lo:[0,1] neg_hi:[0,1]
	v_mov_b32_e32 v99, v35
	v_pk_add_f32 v[32:33], v[32:33], v[26:27]
	v_pk_add_f32 v[26:27], v[84:85], v[106:107]
	v_pk_mul_f32 v[34:35], v[88:89], s[52:53] op_sel:[1,0] op_sel_hi:[0,0]
	v_pk_fma_f32 v[160:161], v[26:27], s[20:21], v[34:35] op_sel_hi:[1,0,1]
	v_pk_fma_f32 v[162:163], v[26:27], s[20:21], v[34:35] op_sel_hi:[1,0,1] neg_lo:[0,0,1] neg_hi:[0,0,1]
	v_mov_b32_e32 v51, v91
	v_mov_b32_e32 v34, v160
	;; [unrolled: 1-line block ×3, first 2 shown]
	v_pk_add_f32 v[90:91], v[92:93], v[56:57] neg_lo:[0,1] neg_hi:[0,1]
	v_mov_b32_e32 v81, v41
	v_pk_add_f32 v[34:35], v[34:35], v[32:33]
	v_pk_add_f32 v[32:33], v[92:93], v[56:57]
	v_pk_mul_f32 v[40:41], v[90:91], s[44:45] op_sel:[1,0] op_sel_hi:[0,0]
	v_mov_b32_e32 v55, v103
	v_pk_fma_f32 v[164:165], v[32:33], s[24:25], v[40:41] op_sel_hi:[1,0,1]
	v_pk_fma_f32 v[166:167], v[32:33], s[24:25], v[40:41] op_sel_hi:[1,0,1] neg_lo:[0,0,1] neg_hi:[0,0,1]
	v_mov_b32_e32 v40, v164
	v_mov_b32_e32 v41, v167
	v_pk_add_f32 v[200:201], v[98:99], v[54:55] neg_lo:[0,1] neg_hi:[0,1]
	v_mov_b32_e32 v87, v43
	v_pk_add_f32 v[40:41], v[40:41], v[34:35]
	v_pk_add_f32 v[34:35], v[98:99], v[54:55]
	v_pk_mul_f32 v[42:43], v[200:201], s[28:29] op_sel:[1,0] op_sel_hi:[0,0]
	v_mov_b32_e32 v53, v97
	v_pk_fma_f32 v[168:169], v[34:35], s[26:27], v[42:43] op_sel_hi:[1,0,1]
	v_pk_fma_f32 v[170:171], v[34:35], s[26:27], v[42:43] op_sel_hi:[1,0,1] neg_lo:[0,0,1] neg_hi:[0,0,1]
	v_mov_b32_e32 v42, v168
	v_mov_b32_e32 v43, v171
	v_pk_add_f32 v[210:211], v[80:81], v[52:53] neg_lo:[0,1] neg_hi:[0,1]
	v_mov_b32_e32 v95, v49
	v_pk_add_f32 v[42:43], v[42:43], v[40:41]
	v_pk_add_f32 v[40:41], v[80:81], v[52:53]
	v_pk_mul_f32 v[48:49], v[210:211], s[36:37] op_sel:[1,0] op_sel_hi:[0,0]
	v_pk_fma_f32 v[172:173], v[40:41], s[34:35], v[48:49] op_sel_hi:[1,0,1]
	v_pk_fma_f32 v[174:175], v[40:41], s[34:35], v[48:49] op_sel_hi:[1,0,1] neg_lo:[0,0,1] neg_hi:[0,0,1]
	v_mov_b32_e32 v48, v172
	v_mov_b32_e32 v49, v175
	v_pk_add_f32 v[220:221], v[86:87], v[50:51] neg_lo:[0,1] neg_hi:[0,1]
	v_pk_add_f32 v[48:49], v[48:49], v[42:43]
	v_pk_add_f32 v[42:43], v[86:87], v[50:51]
	v_pk_mul_f32 v[60:61], v[220:221], s[40:41] op_sel:[1,0] op_sel_hi:[0,0]
	v_pk_fma_f32 v[176:177], v[42:43], s[38:39], v[60:61] op_sel_hi:[1,0,1]
	v_pk_fma_f32 v[178:179], v[42:43], s[38:39], v[60:61] op_sel_hi:[1,0,1] neg_lo:[0,0,1] neg_hi:[0,0,1]
	v_mov_b32_e32 v60, v176
	v_mov_b32_e32 v61, v179
	v_pk_add_f32 v[226:227], v[94:95], v[100:101] neg_lo:[0,1] neg_hi:[0,1]
	v_pk_add_f32 v[60:61], v[60:61], v[48:49]
	v_pk_add_f32 v[48:49], v[94:95], v[100:101]
	v_pk_mul_f32 v[62:63], v[226:227], s[46:47] op_sel:[1,0] op_sel_hi:[0,0]
	v_pk_fma_f32 v[180:181], v[48:49], s[42:43], v[62:63] op_sel_hi:[1,0,1]
	v_pk_fma_f32 v[182:183], v[48:49], s[42:43], v[62:63] op_sel_hi:[1,0,1] neg_lo:[0,0,1] neg_hi:[0,0,1]
	v_mov_b32_e32 v62, v180
	v_mov_b32_e32 v63, v183
	v_pk_add_f32 v[158:159], v[62:63], v[60:61]
	v_pk_mul_f32 v[60:61], v[58:59], s[22:23] op_sel:[1,0] op_sel_hi:[0,0]
	v_pk_fma_f32 v[184:185], v[24:25], s[14:15], v[60:61] op_sel_hi:[1,0,1]
	v_pk_fma_f32 v[186:187], v[24:25], s[14:15], v[60:61] op_sel_hi:[1,0,1] neg_lo:[0,0,1] neg_hi:[0,0,1]
	v_pk_mul_f32 v[62:63], v[82:83], s[44:45] op_sel:[1,0] op_sel_hi:[0,0]
	v_mov_b32_e32 v60, v184
	v_mov_b32_e32 v61, v187
	v_pk_fma_f32 v[188:189], v[2:3], s[24:25], v[62:63] op_sel_hi:[1,0,1]
	v_pk_fma_f32 v[190:191], v[2:3], s[24:25], v[62:63] op_sel_hi:[1,0,1] neg_lo:[0,0,1] neg_hi:[0,0,1]
	v_pk_add_f32 v[60:61], v[0:1], v[60:61]
	v_mov_b32_e32 v62, v188
	v_mov_b32_e32 v63, v191
	v_pk_add_f32 v[60:61], v[62:63], v[60:61]
	v_pk_mul_f32 v[62:63], v[88:89], s[36:37] op_sel:[1,0] op_sel_hi:[0,0]
	v_pk_fma_f32 v[192:193], v[26:27], s[34:35], v[62:63] op_sel_hi:[1,0,1]
	v_pk_fma_f32 v[194:195], v[26:27], s[34:35], v[62:63] op_sel_hi:[1,0,1] neg_lo:[0,0,1] neg_hi:[0,0,1]
	v_mov_b32_e32 v62, v192
	v_mov_b32_e32 v63, v195
	v_pk_add_f32 v[60:61], v[62:63], v[60:61]
	v_pk_mul_f32 v[62:63], v[90:91], s[46:47] op_sel:[1,0] op_sel_hi:[0,0]
	v_pk_fma_f32 v[196:197], v[32:33], s[42:43], v[62:63] op_sel_hi:[1,0,1]
	v_pk_fma_f32 v[198:199], v[32:33], s[42:43], v[62:63] op_sel_hi:[1,0,1] neg_lo:[0,0,1] neg_hi:[0,0,1]
	;; [unrolled: 6-line block ×7, first 2 shown]
	v_pk_mul_f32 v[96:97], v[82:83], s[36:37] op_sel:[1,0] op_sel_hi:[0,0]
	v_mov_b32_e32 v60, v250
	v_mov_b32_e32 v61, v223
	v_pk_fma_f32 v[252:253], v[2:3], s[34:35], v[96:97] op_sel_hi:[1,0,1]
	v_pk_fma_f32 v[224:225], v[2:3], s[34:35], v[96:97] op_sel_hi:[1,0,1] neg_lo:[0,0,1] neg_hi:[0,0,1]
	v_pk_add_f32 v[60:61], v[0:1], v[60:61]
	v_mov_b32_e32 v96, v252
	v_mov_b32_e32 v97, v225
	v_pk_add_f32 v[60:61], v[96:97], v[60:61]
	v_pk_mul_f32 v[96:97], v[88:89], s[30:31] op_sel:[1,0] op_sel_hi:[0,0]
	v_pk_fma_f32 v[254:255], v[26:27], s[42:43], v[96:97] op_sel_hi:[1,0,1]
	v_pk_fma_f32 v[228:229], v[26:27], s[42:43], v[96:97] op_sel_hi:[1,0,1] neg_lo:[0,0,1] neg_hi:[0,0,1]
	v_mov_b32_e32 v96, v254
	v_mov_b32_e32 v97, v229
	v_pk_add_f32 v[60:61], v[96:97], v[60:61]
	v_pk_mul_f32 v[96:97], v[90:91], s[56:57] op_sel:[1,0] op_sel_hi:[0,0]
	v_pk_fma_f32 v[230:231], v[32:33], s[26:27], v[96:97] op_sel_hi:[1,0,1]
	v_pk_fma_f32 v[232:233], v[32:33], s[26:27], v[96:97] op_sel_hi:[1,0,1] neg_lo:[0,0,1] neg_hi:[0,0,1]
	;; [unrolled: 6-line block ×6, first 2 shown]
	v_mov_b32_e32 v96, v246
	v_mov_b32_e32 v97, v249
	v_pk_add_f32 v[60:61], v[96:97], v[60:61]
	s_and_saveexec_b64 s[30:31], s[2:3]
	s_cbranch_execz .LBB0_11
; %bb.10:
	v_pk_add_f32 v[148:149], v[0:1], v[148:149]
	v_mov_b32_e32 v155, v153
	v_pk_add_f32 v[78:79], v[148:149], v[78:79]
	v_mov_b32_e32 v157, v151
	;; [unrolled: 2-line block ×5, first 2 shown]
	v_pk_add_f32 v[78:79], v[78:79], v[80:81]
	v_accvgpr_read_b32 v65, a10
	v_pk_add_f32 v[78:79], v[78:79], v[86:87]
	v_mov_b32_e32 v175, v173
	v_pk_add_f32 v[78:79], v[78:79], v[94:95]
	v_mul_u32_u24_e32 v65, 34, v65
	v_pk_add_f32 v[78:79], v[78:79], v[100:101]
	v_mov_b32_e32 v179, v177
	v_pk_add_f32 v[50:51], v[78:79], v[50:51]
	v_or_b32_e32 v65, v65, v112
	v_pk_add_f32 v[50:51], v[50:51], v[52:53]
	v_pk_add_f32 v[52:53], v[0:1], v[154:155]
	;; [unrolled: 1-line block ×10, first 2 shown]
	v_mov_b32_e32 v183, v181
	v_pk_add_f32 v[52:53], v[174:175], v[52:53]
	v_mov_b32_e32 v223, v251
	v_pk_add_f32 v[52:53], v[178:179], v[52:53]
	v_lshl_add_u32 v65, v65, 3, v108
	v_pk_add_f32 v[50:51], v[50:51], v[146:147]
	v_pk_add_f32 v[52:53], v[182:183], v[52:53]
	v_mov_b32_e32 v187, v185
	v_mov_b32_e32 v225, v253
	ds_write2_b64 v65, v[50:51], v[52:53] offset1:2
	v_pk_add_f32 v[50:51], v[0:1], v[186:187]
	v_mov_b32_e32 v191, v189
	v_pk_add_f32 v[52:53], v[0:1], v[222:223]
	v_mov_b32_e32 v229, v255
	;; [unrolled: 2-line block ×3, first 2 shown]
	v_pk_add_f32 v[52:53], v[224:225], v[52:53]
	v_pk_add_f32 v[50:51], v[194:195], v[50:51]
	v_mov_b32_e32 v199, v197
	v_pk_add_f32 v[52:53], v[228:229], v[52:53]
	v_mov_b32_e32 v233, v231
	;; [unrolled: 2-line block ×10, first 2 shown]
	v_mov_b32_e32 v144, v59
	v_mov_b32_e32 v145, v58
	v_pk_add_f32 v[50:51], v[218:219], v[50:51]
	v_pk_add_f32 v[52:53], v[248:249], v[52:53]
	ds_write2_b64 v65, v[50:51], v[52:53] offset0:4 offset1:6
	v_pk_mul_f32 v[52:53], v[144:145], s[44:45] op_sel_hi:[1,0]
	v_mov_b32_e32 v142, v83
	v_mov_b32_e32 v143, v82
	v_pk_fma_f32 v[50:51], v[24:25], s[24:25], v[52:53] op_sel_hi:[1,0,1] neg_lo:[0,0,1] neg_hi:[0,0,1]
	v_pk_fma_f32 v[52:53], v[24:25], s[24:25], v[52:53] op_sel_hi:[1,0,1]
	v_mov_b32_e32 v54, v50
	v_mov_b32_e32 v55, v53
	v_pk_mul_f32 v[56:57], v[142:143], s[46:47] op_sel_hi:[1,0]
	v_pk_add_f32 v[78:79], v[0:1], v[54:55]
	v_pk_fma_f32 v[54:55], v[2:3], s[42:43], v[56:57] op_sel_hi:[1,0,1] neg_lo:[0,0,1] neg_hi:[0,0,1]
	v_pk_fma_f32 v[56:57], v[2:3], s[42:43], v[56:57] op_sel_hi:[1,0,1]
	v_mov_b32_e32 v102, v89
	v_mov_b32_e32 v103, v88
	;; [unrolled: 1-line block ×4, first 2 shown]
	v_pk_add_f32 v[84:85], v[80:81], v[78:79]
	v_pk_mul_f32 v[80:81], v[102:103], s[56:57] op_sel_hi:[1,0]
	v_mov_b32_e32 v96, v91
	v_pk_fma_f32 v[78:79], v[26:27], s[26:27], v[80:81] op_sel_hi:[1,0,1] neg_lo:[0,0,1] neg_hi:[0,0,1]
	v_pk_fma_f32 v[80:81], v[26:27], s[26:27], v[80:81] op_sel_hi:[1,0,1]
	v_mov_b32_e32 v97, v90
	v_mov_b32_e32 v86, v78
	v_mov_b32_e32 v87, v81
	v_pk_add_f32 v[92:93], v[86:87], v[84:85]
	v_pk_mul_f32 v[86:87], v[96:97], s[50:51] op_sel_hi:[1,0]
	v_mov_b32_e32 v90, v201
	v_pk_fma_f32 v[84:85], v[32:33], s[6:7], v[86:87] op_sel_hi:[1,0,1] neg_lo:[0,0,1] neg_hi:[0,0,1]
	v_pk_fma_f32 v[86:87], v[32:33], s[6:7], v[86:87] op_sel_hi:[1,0,1]
	v_mov_b32_e32 v91, v200
	v_mov_b32_e32 v94, v84
	v_mov_b32_e32 v95, v87
	;; [unrolled: 8-line block ×4, first 2 shown]
	s_mov_b32 s60, 0x3f4c4adb
	v_pk_add_f32 v[146:147], v[106:107], v[104:105]
	v_pk_mul_f32 v[106:107], v[82:83], s[60:61] op_sel_hi:[1,0]
	v_mov_b32_e32 v58, v227
	v_pk_fma_f32 v[104:105], v[42:43], s[34:35], v[106:107] op_sel_hi:[1,0,1] neg_lo:[0,0,1] neg_hi:[0,0,1]
	v_pk_fma_f32 v[106:107], v[42:43], s[34:35], v[106:107] op_sel_hi:[1,0,1]
	v_mov_b32_e32 v59, v226
	v_mov_b32_e32 v148, v104
	v_mov_b32_e32 v149, v107
	v_pk_add_f32 v[150:151], v[148:149], v[146:147]
	v_pk_mul_f32 v[148:149], v[58:59], s[54:55] op_sel_hi:[1,0]
	v_pk_mul_f32 v[156:157], v[142:143], s[58:59] op_sel_hi:[1,0]
	v_pk_fma_f32 v[146:147], v[48:49], s[14:15], v[148:149] op_sel_hi:[1,0,1] neg_lo:[0,0,1] neg_hi:[0,0,1]
	v_pk_fma_f32 v[148:149], v[48:49], s[14:15], v[148:149] op_sel_hi:[1,0,1]
	v_mov_b32_e32 v152, v146
	v_mov_b32_e32 v153, v149
	v_pk_add_f32 v[168:169], v[152:153], v[150:151]
	v_pk_mul_f32 v[152:153], v[144:145], s[28:29] op_sel_hi:[1,0]
	v_pk_mul_f32 v[162:163], v[102:103], s[54:55] op_sel_hi:[1,0]
	v_pk_fma_f32 v[150:151], v[24:25], s[26:27], v[152:153] op_sel_hi:[1,0,1] neg_lo:[0,0,1] neg_hi:[0,0,1]
	v_pk_fma_f32 v[152:153], v[24:25], s[26:27], v[152:153] op_sel_hi:[1,0,1]
	v_mov_b32_e32 v154, v150
	v_mov_b32_e32 v155, v153
	v_pk_add_f32 v[160:161], v[0:1], v[154:155]
	v_pk_fma_f32 v[154:155], v[2:3], s[38:39], v[156:157] op_sel_hi:[1,0,1] neg_lo:[0,0,1] neg_hi:[0,0,1]
	v_pk_fma_f32 v[156:157], v[2:3], s[38:39], v[156:157] op_sel_hi:[1,0,1]
	v_mov_b32_e32 v164, v154
	v_mov_b32_e32 v165, v157
	v_pk_add_f32 v[164:165], v[164:165], v[160:161]
	v_pk_fma_f32 v[160:161], v[26:27], s[14:15], v[162:163] op_sel_hi:[1,0,1] neg_lo:[0,0,1] neg_hi:[0,0,1]
	v_pk_fma_f32 v[162:163], v[26:27], s[14:15], v[162:163] op_sel_hi:[1,0,1]
	v_pk_mul_f32 v[166:167], v[96:97], s[52:53] op_sel_hi:[1,0]
	v_mov_b32_e32 v178, v160
	v_mov_b32_e32 v179, v163
	v_pk_add_f32 v[178:179], v[178:179], v[164:165]
	v_pk_fma_f32 v[164:165], v[32:33], s[20:21], v[166:167] op_sel_hi:[1,0,1] neg_lo:[0,0,1] neg_hi:[0,0,1]
	v_pk_fma_f32 v[166:167], v[32:33], s[20:21], v[166:167] op_sel_hi:[1,0,1]
	v_pk_mul_f32 v[170:171], v[90:91], s[46:47] op_sel_hi:[1,0]
	v_mov_b32_e32 v180, v164
	v_mov_b32_e32 v181, v167
	s_mov_b32 s52, 0x3f7ee86f
	v_pk_add_f32 v[178:179], v[180:181], v[178:179]
	v_pk_fma_f32 v[180:181], v[34:35], s[42:43], v[170:171] op_sel_hi:[1,0,1] neg_lo:[0,0,1] neg_hi:[0,0,1]
	v_pk_fma_f32 v[170:171], v[34:35], s[42:43], v[170:171] op_sel_hi:[1,0,1]
	v_pk_mul_f32 v[172:173], v[88:89], s[52:53] op_sel_hi:[1,0]
	v_mov_b32_e32 v182, v180
	v_mov_b32_e32 v183, v171
	v_pk_add_f32 v[178:179], v[182:183], v[178:179]
	v_pk_fma_f32 v[182:183], v[40:41], s[24:25], v[172:173] op_sel_hi:[1,0,1] neg_lo:[0,0,1] neg_hi:[0,0,1]
	v_pk_fma_f32 v[172:173], v[40:41], s[24:25], v[172:173] op_sel_hi:[1,0,1]
	v_pk_mul_f32 v[174:175], v[82:83], s[18:19] op_sel_hi:[1,0]
	v_mov_b32_e32 v184, v182
	v_mov_b32_e32 v185, v173
	;; [unrolled: 6-line block ×3, first 2 shown]
	v_pk_add_f32 v[178:179], v[186:187], v[178:179]
	v_pk_fma_f32 v[186:187], v[48:49], s[34:35], v[176:177] op_sel_hi:[1,0,1] neg_lo:[0,0,1] neg_hi:[0,0,1]
	v_pk_fma_f32 v[176:177], v[48:49], s[34:35], v[176:177] op_sel_hi:[1,0,1]
	v_mov_b32_e32 v188, v186
	v_mov_b32_e32 v189, v177
	v_pk_add_f32 v[178:179], v[188:189], v[178:179]
	ds_write2_b64 v65, v[168:169], v[178:179] offset0:8 offset1:10
	v_pk_mul_f32 v[168:169], v[144:145], s[36:37] op_sel_hi:[1,0]
	v_pk_mul_f32 v[190:191], v[142:143], s[56:57] op_sel_hi:[1,0]
	v_pk_fma_f32 v[178:179], v[24:25], s[34:35], v[168:169] op_sel_hi:[1,0,1] neg_lo:[0,0,1] neg_hi:[0,0,1]
	v_pk_fma_f32 v[168:169], v[24:25], s[34:35], v[168:169] op_sel_hi:[1,0,1]
	v_mov_b32_e32 v188, v178
	v_mov_b32_e32 v189, v169
	v_pk_fma_f32 v[192:193], v[2:3], s[26:27], v[190:191] op_sel_hi:[1,0,1] neg_lo:[0,0,1] neg_hi:[0,0,1]
	v_pk_fma_f32 v[190:191], v[2:3], s[26:27], v[190:191] op_sel_hi:[1,0,1]
	v_pk_add_f32 v[188:189], v[0:1], v[188:189]
	v_mov_b32_e32 v194, v192
	v_mov_b32_e32 v195, v191
	v_pk_add_f32 v[188:189], v[194:195], v[188:189]
	v_pk_mul_f32 v[194:195], v[102:103], s[18:19] op_sel_hi:[1,0]
	v_pk_mul_f32 v[220:221], v[142:143], s[48:49] op_sel_hi:[1,0]
	v_pk_fma_f32 v[196:197], v[26:27], s[6:7], v[194:195] op_sel_hi:[1,0,1] neg_lo:[0,0,1] neg_hi:[0,0,1]
	v_pk_fma_f32 v[194:195], v[26:27], s[6:7], v[194:195] op_sel_hi:[1,0,1]
	v_mov_b32_e32 v198, v196
	v_mov_b32_e32 v199, v195
	v_pk_add_f32 v[188:189], v[198:199], v[188:189]
	v_pk_mul_f32 v[198:199], v[96:97], s[40:41] op_sel_hi:[1,0]
	v_pk_fma_f32 v[238:239], v[2:3], s[20:21], v[220:221] op_sel_hi:[1,0,1] neg_lo:[0,0,1] neg_hi:[0,0,1]
	v_pk_fma_f32 v[200:201], v[32:33], s[38:39], v[198:199] op_sel_hi:[1,0,1] neg_lo:[0,0,1] neg_hi:[0,0,1]
	v_pk_fma_f32 v[198:199], v[32:33], s[38:39], v[198:199] op_sel_hi:[1,0,1]
	v_mov_b32_e32 v202, v200
	v_mov_b32_e32 v203, v199
	v_pk_add_f32 v[188:189], v[202:203], v[188:189]
	v_pk_mul_f32 v[202:203], v[90:91], s[52:53] op_sel_hi:[1,0]
	v_pk_fma_f32 v[220:221], v[2:3], s[20:21], v[220:221] op_sel_hi:[1,0,1]
	v_pk_fma_f32 v[204:205], v[34:35], s[24:25], v[202:203] op_sel_hi:[1,0,1] neg_lo:[0,0,1] neg_hi:[0,0,1]
	v_pk_fma_f32 v[202:203], v[34:35], s[24:25], v[202:203] op_sel_hi:[1,0,1]
	v_mov_b32_e32 v206, v204
	v_mov_b32_e32 v207, v203
	v_pk_add_f32 v[188:189], v[206:207], v[188:189]
	v_pk_mul_f32 v[206:207], v[88:89], s[22:23] op_sel_hi:[1,0]
	v_pk_mul_f32 v[222:223], v[102:103], s[44:45] op_sel_hi:[1,0]
	v_pk_fma_f32 v[208:209], v[40:41], s[14:15], v[206:207] op_sel_hi:[1,0,1] neg_lo:[0,0,1] neg_hi:[0,0,1]
	v_pk_fma_f32 v[206:207], v[40:41], s[14:15], v[206:207] op_sel_hi:[1,0,1]
	v_mov_b32_e32 v210, v208
	v_mov_b32_e32 v211, v207
	v_pk_add_f32 v[188:189], v[210:211], v[188:189]
	v_pk_mul_f32 v[210:211], v[82:83], s[46:47] op_sel_hi:[1,0]
	v_mov_b32_e32 v240, v238
	v_pk_fma_f32 v[212:213], v[42:43], s[42:43], v[210:211] op_sel_hi:[1,0,1] neg_lo:[0,0,1] neg_hi:[0,0,1]
	v_pk_fma_f32 v[210:211], v[42:43], s[42:43], v[210:211] op_sel_hi:[1,0,1]
	v_mov_b32_e32 v214, v212
	v_mov_b32_e32 v215, v211
	v_pk_add_f32 v[188:189], v[214:215], v[188:189]
	v_pk_mul_f32 v[214:215], v[58:59], s[48:49] op_sel_hi:[1,0]
	v_mov_b32_e32 v241, v221
	v_pk_fma_f32 v[216:217], v[48:49], s[20:21], v[214:215] op_sel_hi:[1,0,1] neg_lo:[0,0,1] neg_hi:[0,0,1]
	v_pk_fma_f32 v[214:215], v[48:49], s[20:21], v[214:215] op_sel_hi:[1,0,1]
	v_mov_b32_e32 v218, v216
	v_mov_b32_e32 v219, v215
	v_pk_add_f32 v[188:189], v[218:219], v[188:189]
	v_pk_mul_f32 v[218:219], v[144:145], s[40:41] op_sel_hi:[1,0]
	v_pk_mul_f32 v[224:225], v[96:97], s[60:61] op_sel_hi:[1,0]
	v_pk_fma_f32 v[234:235], v[24:25], s[38:39], v[218:219] op_sel_hi:[1,0,1] neg_lo:[0,0,1] neg_hi:[0,0,1]
	v_pk_fma_f32 v[218:219], v[24:25], s[38:39], v[218:219] op_sel_hi:[1,0,1]
	v_mov_b32_e32 v236, v234
	v_mov_b32_e32 v237, v219
	v_pk_add_f32 v[236:237], v[0:1], v[236:237]
	v_pk_mul_f32 v[226:227], v[90:91], s[18:19] op_sel_hi:[1,0]
	v_pk_add_f32 v[236:237], v[240:241], v[236:237]
	v_pk_fma_f32 v[240:241], v[26:27], s[24:25], v[222:223] op_sel_hi:[1,0,1] neg_lo:[0,0,1] neg_hi:[0,0,1]
	v_pk_fma_f32 v[222:223], v[26:27], s[24:25], v[222:223] op_sel_hi:[1,0,1]
	v_mov_b32_e32 v242, v240
	v_mov_b32_e32 v243, v223
	v_pk_add_f32 v[236:237], v[242:243], v[236:237]
	v_pk_fma_f32 v[242:243], v[32:33], s[34:35], v[224:225] op_sel_hi:[1,0,1] neg_lo:[0,0,1] neg_hi:[0,0,1]
	v_pk_fma_f32 v[224:225], v[32:33], s[34:35], v[224:225] op_sel_hi:[1,0,1]
	v_mov_b32_e32 v244, v242
	v_mov_b32_e32 v245, v225
	v_pk_add_f32 v[236:237], v[244:245], v[236:237]
	v_pk_fma_f32 v[244:245], v[34:35], s[6:7], v[226:227] op_sel_hi:[1,0,1] neg_lo:[0,0,1] neg_hi:[0,0,1]
	v_pk_fma_f32 v[226:227], v[34:35], s[6:7], v[226:227] op_sel_hi:[1,0,1]
	v_pk_mul_f32 v[228:229], v[88:89], s[46:47] op_sel_hi:[1,0]
	v_mov_b32_e32 v246, v244
	v_mov_b32_e32 v247, v227
	v_pk_add_f32 v[236:237], v[246:247], v[236:237]
	v_pk_fma_f32 v[246:247], v[40:41], s[42:43], v[228:229] op_sel_hi:[1,0,1] neg_lo:[0,0,1] neg_hi:[0,0,1]
	v_pk_fma_f32 v[228:229], v[40:41], s[42:43], v[228:229] op_sel_hi:[1,0,1]
	v_pk_mul_f32 v[230:231], v[82:83], s[54:55] op_sel_hi:[1,0]
	;; [unrolled: 6-line block ×3, first 2 shown]
	v_mov_b32_e32 v250, v248
	v_mov_b32_e32 v251, v231
	v_pk_add_f32 v[236:237], v[250:251], v[236:237]
	v_pk_fma_f32 v[250:251], v[48:49], s[26:27], v[232:233] op_sel_hi:[1,0,1] neg_lo:[0,0,1] neg_hi:[0,0,1]
	v_pk_fma_f32 v[232:233], v[48:49], s[26:27], v[232:233] op_sel_hi:[1,0,1]
	v_mov_b32_e32 v252, v250
	v_mov_b32_e32 v253, v233
	v_pk_add_f32 v[236:237], v[252:253], v[236:237]
	v_pk_mul_f32 v[144:145], v[144:145], s[46:47] op_sel_hi:[1,0]
	ds_write2_b64 v65, v[188:189], v[236:237] offset0:12 offset1:14
	v_pk_fma_f32 v[188:189], v[24:25], s[42:43], v[144:145] op_sel_hi:[1,0,1] neg_lo:[0,0,1] neg_hi:[0,0,1]
	v_pk_fma_f32 v[24:25], v[24:25], s[42:43], v[144:145] op_sel_hi:[1,0,1]
	v_pk_mul_f32 v[142:143], v[142:143], s[50:51] op_sel_hi:[1,0]
	v_mov_b32_e32 v144, v188
	v_mov_b32_e32 v145, v25
	v_pk_fma_f32 v[236:237], v[2:3], s[6:7], v[142:143] op_sel_hi:[1,0,1] neg_lo:[0,0,1] neg_hi:[0,0,1]
	v_pk_fma_f32 v[2:3], v[2:3], s[6:7], v[142:143] op_sel_hi:[1,0,1]
	v_pk_add_f32 v[144:145], v[0:1], v[144:145]
	v_mov_b32_e32 v142, v236
	v_mov_b32_e32 v143, v3
	v_pk_mul_f32 v[102:103], v[102:103], s[40:41] op_sel_hi:[1,0]
	v_pk_add_f32 v[142:143], v[142:143], v[144:145]
	v_pk_fma_f32 v[144:145], v[26:27], s[38:39], v[102:103] op_sel_hi:[1,0,1] neg_lo:[0,0,1] neg_hi:[0,0,1]
	v_pk_fma_f32 v[26:27], v[26:27], s[38:39], v[102:103] op_sel_hi:[1,0,1]
	v_mov_b32_e32 v102, v144
	v_mov_b32_e32 v103, v27
	v_pk_mul_f32 v[96:97], v[96:97], s[54:55] op_sel_hi:[1,0]
	v_pk_add_f32 v[102:103], v[102:103], v[142:143]
	v_pk_fma_f32 v[142:143], v[32:33], s[14:15], v[96:97] op_sel_hi:[1,0,1] neg_lo:[0,0,1] neg_hi:[0,0,1]
	v_pk_fma_f32 v[32:33], v[32:33], s[14:15], v[96:97] op_sel_hi:[1,0,1]
	;; [unrolled: 6-line block ×3, first 2 shown]
	v_mov_b32_e32 v25, v189
	v_mov_b32_e32 v90, v102
	v_mov_b32_e32 v91, v35
	v_pk_mul_f32 v[88:89], v[88:89], s[48:49] op_sel_hi:[1,0]
	v_pk_add_f32 v[24:25], v[0:1], v[24:25]
	v_mov_b32_e32 v3, v237
	v_pk_add_f32 v[90:91], v[90:91], v[96:97]
	v_pk_fma_f32 v[96:97], v[40:41], s[20:21], v[88:89] op_sel_hi:[1,0,1] neg_lo:[0,0,1] neg_hi:[0,0,1]
	v_pk_fma_f32 v[40:41], v[40:41], s[20:21], v[88:89] op_sel_hi:[1,0,1]
	v_pk_add_f32 v[2:3], v[2:3], v[24:25]
	v_mov_b32_e32 v27, v145
	v_mov_b32_e32 v88, v96
	v_mov_b32_e32 v89, v41
	v_pk_mul_f32 v[82:83], v[82:83], s[28:29] op_sel_hi:[1,0]
	v_pk_add_f32 v[2:3], v[26:27], v[2:3]
	v_mov_b32_e32 v33, v143
	v_pk_add_f32 v[88:89], v[88:89], v[90:91]
	v_pk_fma_f32 v[90:91], v[42:43], s[26:27], v[82:83] op_sel_hi:[1,0,1] neg_lo:[0,0,1] neg_hi:[0,0,1]
	v_pk_fma_f32 v[42:43], v[42:43], s[26:27], v[82:83] op_sel_hi:[1,0,1]
	v_pk_add_f32 v[2:3], v[32:33], v[2:3]
	;; [unrolled: 10-line block ×3, first 2 shown]
	v_mov_b32_e32 v43, v91
	v_mov_b32_e32 v58, v88
	;; [unrolled: 1-line block ×3, first 2 shown]
	v_pk_add_f32 v[2:3], v[42:43], v[2:3]
	v_mov_b32_e32 v49, v89
	v_pk_add_f32 v[58:59], v[58:59], v[82:83]
	v_pk_add_f32 v[2:3], v[48:49], v[2:3]
	v_mov_b32_e32 v219, v235
	v_mov_b32_e32 v169, v179
	ds_write2_b64 v65, v[58:59], v[2:3] offset0:16 offset1:18
	v_pk_add_f32 v[2:3], v[0:1], v[218:219]
	v_mov_b32_e32 v221, v239
	v_pk_add_f32 v[24:25], v[0:1], v[168:169]
	v_mov_b32_e32 v191, v193
	;; [unrolled: 2-line block ×14, first 2 shown]
	v_pk_add_f32 v[2:3], v[232:233], v[2:3]
	v_pk_add_f32 v[24:25], v[214:215], v[24:25]
	v_mov_b32_e32 v153, v151
	v_mov_b32_e32 v53, v51
	ds_write2_b64 v65, v[2:3], v[24:25] offset0:20 offset1:22
	v_pk_add_f32 v[2:3], v[0:1], v[152:153]
	v_mov_b32_e32 v157, v155
	v_pk_add_f32 v[0:1], v[0:1], v[52:53]
	v_mov_b32_e32 v57, v55
	;; [unrolled: 2-line block ×14, first 2 shown]
	v_pk_add_f32 v[2:3], v[176:177], v[2:3]
	v_pk_add_f32 v[0:1], v[148:149], v[0:1]
	ds_write2_b64 v65, v[2:3], v[0:1] offset0:24 offset1:26
	ds_write2_b64 v65, v[60:61], v[62:63] offset0:28 offset1:30
	ds_write_b64 v65, v[158:159] offset:256
.LBB0_11:
	s_or_b64 exec, exec, s[30:31]
	v_add_u32_e32 v24, 0x800, v131
	v_add_u32_e32 v25, 0x1000, v131
	s_waitcnt lgkmcnt(0)
	s_barrier
	ds_read2_b64 v[52:55], v131 offset1:68
	ds_read2_b64 v[0:3], v24 offset0:152 offset1:254
	ds_read2_b64 v[56:59], v25 offset0:66 offset1:134
	;; [unrolled: 1-line block ×3, first 2 shown]
	v_add_u32_e32 v25, 0x1400, v131
	ds_read2_b64 v[40:43], v25 offset0:74 offset1:142
	ds_read2_b64 v[32:35], v24 offset0:16 offset1:84
	v_add_u32_e32 v24, 0x1800, v131
	ds_read2_b64 v[24:27], v24 offset0:82 offset1:150
	v_lshlrev_b32_e32 v65, 1, v138
	s_and_saveexec_b64 s[6:7], s[4:5]
	s_cbranch_execz .LBB0_13
; %bb.12:
	ds_read_b64 v[60:61], v131 offset:3808
	ds_read_b64 v[62:63], v131 offset:7888
.LBB0_13:
	s_or_b64 exec, exec, s[6:7]
	s_movk_i32 s6, 0xffde
	s_mov_b32 s7, -1
	v_lshl_add_u64 v[78:79], v[138:139], 0, s[6:7]
	s_movk_i32 s6, 0xf1
	v_cndmask_b32_e64 v79, v79, 0, s[4:5]
	v_cndmask_b32_e64 v78, v78, v138, s[4:5]
	v_mul_lo_u16_sdwa v67, v72, s6 dst_sel:DWORD dst_unused:UNUSED_PAD src0_sel:BYTE_0 src1_sel:DWORD
	v_mul_lo_u16_sdwa v75, v64, s6 dst_sel:DWORD dst_unused:UNUSED_PAD src0_sel:BYTE_0 src1_sel:DWORD
	s_mov_b32 s6, 0xf0f1
	v_lshl_add_u64 v[80:81], v[78:79], 3, s[0:1]
	v_mul_u32_u24_sdwa v79, v76, s6 dst_sel:DWORD dst_unused:UNUSED_PAD src0_sel:WORD_0 src1_sel:DWORD
	v_lshrrev_b32_e32 v79, 21, v79
	v_lshrrev_b16_e32 v71, 13, v67
	v_mul_lo_u16_e32 v79, 34, v79
	global_load_dwordx2 v[114:115], v[80:81], off offset:256
	v_mul_lo_u16_e32 v67, 34, v71
	v_lshrrev_b16_e32 v75, 13, v75
	v_sub_u16_e32 v80, v76, v79
	v_sub_u16_e32 v73, v72, v67
	v_mov_b32_e32 v67, 3
	v_mul_lo_u16_e32 v77, 34, v75
	v_lshlrev_b32_e32 v76, 3, v80
	v_lshlrev_b32_sdwa v69, v67, v73 dst_sel:DWORD dst_unused:UNUSED_PAD src0_sel:DWORD src1_sel:BYTE_0
	v_sub_u16_e32 v77, v64, v77
	global_load_dwordx2 v[142:143], v76, s[0:1] offset:256
	v_lshlrev_b32_sdwa v67, v67, v77 dst_sel:DWORD dst_unused:UNUSED_PAD src0_sel:DWORD src1_sel:BYTE_0
	global_load_dwordx2 v[118:119], v69, s[0:1] offset:256
	global_load_dwordx2 v[116:117], v67, s[0:1] offset:256
	v_mul_u32_u24_sdwa v69, v68, s6 dst_sel:DWORD dst_unused:UNUSED_PAD src0_sel:WORD_0 src1_sel:DWORD
	v_lshrrev_b32_e32 v81, 21, v69
	v_mul_lo_u16_e32 v67, 34, v81
	v_sub_u16_e32 v82, v68, v67
	v_lshlrev_b32_e32 v67, 3, v82
	global_load_dwordx2 v[120:121], v67, s[0:1] offset:256
	v_mul_u32_u24_sdwa v67, v66, s6 dst_sel:DWORD dst_unused:UNUSED_PAD src0_sel:WORD_0 src1_sel:DWORD
	v_lshrrev_b32_e32 v83, 21, v67
	v_mul_lo_u16_e32 v76, 34, v83
	v_sub_u16_e32 v84, v66, v76
	v_lshlrev_b32_e32 v76, 3, v84
	;; [unrolled: 6-line block ×4, first 2 shown]
	global_load_dwordx2 v[156:157], v70, s[0:1] offset:256
	v_mov_b32_e32 v70, 0x44
	v_cmp_lt_u16_e32 vcc, 33, v138
	v_mul_u32_u24_e32 v71, 0x44, v71
	v_mul_u32_u24_e32 v74, 0x44, v75
	v_cndmask_b32_e32 v70, 0, v70, vcc
	v_add_u32_e32 v70, v78, v70
	v_lshl_add_u32 v145, v70, 3, v108
	v_add_u32_sdwa v70, v71, v73 dst_sel:DWORD dst_unused:UNUSED_PAD src0_sel:DWORD src1_sel:BYTE_0
	v_add_u32_sdwa v71, v74, v77 dst_sel:DWORD dst_unused:UNUSED_PAD src0_sel:DWORD src1_sel:BYTE_0
	v_lshl_add_u32 v144, v70, 3, v108
	v_lshl_add_u32 v139, v71, 3, v108
	s_movk_i32 s6, 0x44
	s_waitcnt lgkmcnt(0)
	s_barrier
	v_lshl_add_u32 v150, v80, 3, v108
	s_waitcnt vmcnt(7)
	v_pk_mul_f32 v[70:71], v[2:3], v[114:115] op_sel:[0,1]
	s_nop 0
	v_pk_fma_f32 v[74:75], v[2:3], v[114:115], v[70:71] op_sel:[0,0,1] op_sel_hi:[1,1,0] neg_lo:[0,0,1] neg_hi:[0,0,1]
	v_pk_fma_f32 v[2:3], v[2:3], v[114:115], v[70:71] op_sel:[0,0,1] op_sel_hi:[1,0,0]
	s_waitcnt vmcnt(6)
	v_pk_mul_f32 v[70:71], v[62:63], v[142:143] op_sel:[1,0]
	v_mov_b32_e32 v75, v3
	s_waitcnt vmcnt(5)
	v_pk_mul_f32 v[2:3], v[56:57], v[118:119] op_sel:[0,1]
	s_waitcnt vmcnt(4)
	v_pk_mul_f32 v[76:77], v[58:59], v[116:117] op_sel:[0,1]
	v_pk_fma_f32 v[78:79], v[62:63], v[142:143], v[70:71] op_sel:[0,0,1] op_sel_hi:[1,1,0] neg_lo:[0,0,1] neg_hi:[0,0,1]
	v_pk_fma_f32 v[62:63], v[62:63], v[142:143], v[70:71] op_sel:[0,0,1] op_sel_hi:[0,1,0]
	v_pk_add_f32 v[70:71], v[52:53], v[74:75] neg_lo:[0,1] neg_hi:[0,1]
	v_pk_fma_f32 v[74:75], v[56:57], v[118:119], v[2:3] op_sel:[0,0,1] op_sel_hi:[1,1,0] neg_lo:[0,0,1] neg_hi:[0,0,1]
	v_pk_fma_f32 v[2:3], v[56:57], v[118:119], v[2:3] op_sel:[0,0,1] op_sel_hi:[1,0,0]
	v_pk_fma_f32 v[56:57], v[58:59], v[116:117], v[76:77] op_sel:[0,0,1] op_sel_hi:[1,1,0] neg_lo:[0,0,1] neg_hi:[0,0,1]
	v_pk_fma_f32 v[58:59], v[58:59], v[116:117], v[76:77] op_sel:[0,0,1] op_sel_hi:[1,0,0]
	v_mov_b32_e32 v75, v3
	v_pk_fma_f32 v[52:53], v[52:53], 2.0, v[70:71] op_sel_hi:[1,0,1] neg_lo:[0,0,1] neg_hi:[0,0,1]
	v_mov_b32_e32 v57, v59
	v_pk_add_f32 v[2:3], v[54:55], v[74:75] neg_lo:[0,1] neg_hi:[0,1]
	ds_write2_b64 v145, v[52:53], v[70:71] offset1:34
	v_pk_add_f32 v[52:53], v[48:49], v[56:57] neg_lo:[0,1] neg_hi:[0,1]
	v_pk_fma_f32 v[54:55], v[54:55], 2.0, v[2:3] op_sel_hi:[1,0,1] neg_lo:[0,0,1] neg_hi:[0,0,1]
	v_pk_fma_f32 v[48:49], v[48:49], 2.0, v[52:53] op_sel_hi:[1,0,1] neg_lo:[0,0,1] neg_hi:[0,0,1]
	ds_write2_b64 v144, v[54:55], v[2:3] offset1:34
	ds_write2_b64 v139, v[48:49], v[52:53] offset1:34
	v_mad_legacy_u16 v2, v81, s6, v82
	v_lshl_add_u32 v147, v2, 3, v108
	s_waitcnt vmcnt(3)
	v_pk_mul_f32 v[2:3], v[40:41], v[120:121] op_sel:[0,1]
	v_mov_b32_e32 v79, v63
	v_pk_fma_f32 v[48:49], v[40:41], v[120:121], v[2:3] op_sel:[0,0,1] op_sel_hi:[1,1,0] neg_lo:[0,0,1] neg_hi:[0,0,1]
	v_pk_fma_f32 v[2:3], v[40:41], v[120:121], v[2:3] op_sel:[0,0,1] op_sel_hi:[1,0,0]
	v_pk_add_f32 v[160:161], v[60:61], v[78:79] neg_lo:[0,1] neg_hi:[0,1]
	v_mov_b32_e32 v49, v3
	v_pk_add_f32 v[2:3], v[50:51], v[48:49] neg_lo:[0,1] neg_hi:[0,1]
	s_nop 0
	v_pk_fma_f32 v[40:41], v[50:51], 2.0, v[2:3] op_sel_hi:[1,0,1] neg_lo:[0,0,1] neg_hi:[0,0,1]
	ds_write2_b64 v147, v[40:41], v[2:3] offset1:34
	v_mad_legacy_u16 v2, v83, s6, v84
	v_lshl_add_u32 v149, v2, 3, v108
	s_waitcnt vmcnt(2)
	v_pk_mul_f32 v[2:3], v[42:43], v[152:153] op_sel:[0,1]
	s_nop 0
	v_pk_fma_f32 v[40:41], v[42:43], v[152:153], v[2:3] op_sel:[0,0,1] op_sel_hi:[1,1,0] neg_lo:[0,0,1] neg_hi:[0,0,1]
	v_pk_fma_f32 v[2:3], v[42:43], v[152:153], v[2:3] op_sel:[0,0,1] op_sel_hi:[1,0,0]
	s_nop 0
	v_mov_b32_e32 v41, v3
	v_pk_add_f32 v[2:3], v[32:33], v[40:41] neg_lo:[0,1] neg_hi:[0,1]
	s_nop 0
	v_pk_fma_f32 v[32:33], v[32:33], 2.0, v[2:3] op_sel_hi:[1,0,1] neg_lo:[0,0,1] neg_hi:[0,0,1]
	ds_write2_b64 v149, v[32:33], v[2:3] offset1:34
	v_mad_legacy_u16 v2, v85, s6, v86
	v_lshl_add_u32 v151, v2, 3, v108
	s_waitcnt vmcnt(1)
	v_pk_mul_f32 v[2:3], v[24:25], v[154:155] op_sel:[0,1]
	s_nop 0
	v_pk_fma_f32 v[32:33], v[24:25], v[154:155], v[2:3] op_sel:[0,0,1] op_sel_hi:[1,1,0] neg_lo:[0,0,1] neg_hi:[0,0,1]
	v_pk_fma_f32 v[2:3], v[24:25], v[154:155], v[2:3] op_sel:[0,0,1] op_sel_hi:[1,0,0]
	s_nop 0
	v_mov_b32_e32 v33, v3
	v_pk_add_f32 v[2:3], v[34:35], v[32:33] neg_lo:[0,1] neg_hi:[0,1]
	s_nop 0
	v_pk_fma_f32 v[24:25], v[34:35], 2.0, v[2:3] op_sel_hi:[1,0,1] neg_lo:[0,0,1] neg_hi:[0,0,1]
	ds_write2_b64 v151, v[24:25], v[2:3] offset1:34
	v_mad_legacy_u16 v2, v87, s6, v88
	v_lshl_add_u32 v32, v2, 3, v108
	s_waitcnt vmcnt(0)
	v_pk_mul_f32 v[2:3], v[26:27], v[156:157] op_sel:[0,1]
	v_accvgpr_write_b32 a40, v32
	v_pk_fma_f32 v[24:25], v[26:27], v[156:157], v[2:3] op_sel:[0,0,1] op_sel_hi:[1,1,0] neg_lo:[0,0,1] neg_hi:[0,0,1]
	v_pk_fma_f32 v[2:3], v[26:27], v[156:157], v[2:3] op_sel:[0,0,1] op_sel_hi:[1,0,0]
	s_nop 0
	v_mov_b32_e32 v25, v3
	v_pk_add_f32 v[2:3], v[0:1], v[24:25] neg_lo:[0,1] neg_hi:[0,1]
	s_nop 0
	v_pk_fma_f32 v[0:1], v[0:1], 2.0, v[2:3] op_sel_hi:[1,0,1] neg_lo:[0,0,1] neg_hi:[0,0,1]
	ds_write2_b64 v32, v[0:1], v[2:3] offset1:34
	s_and_saveexec_b64 s[6:7], s[4:5]
	s_cbranch_execz .LBB0_15
; %bb.14:
	v_pk_fma_f32 v[0:1], v[60:61], 2.0, v[160:161] op_sel_hi:[1,0,1] neg_lo:[0,0,1] neg_hi:[0,0,1]
	v_add_u32_e32 v2, 0x1800, v150
	ds_write2_b64 v2, v[0:1], v[160:161] offset0:184 offset1:218
.LBB0_15:
	s_or_b64 exec, exec, s[6:7]
	v_lshlrev_b32_e32 v24, 3, v138
	v_mov_b32_e32 v25, 0
	v_lshl_add_u64 v[74:75], s[16:17], 0, v[24:25]
	v_lshrrev_b32_e32 v24, 22, v69
	v_mul_lo_u16_e32 v24, 0x44, v24
	v_lshlrev_b32_e32 v0, 3, v65
	v_sub_u16_e32 v65, v68, v24
	v_lshlrev_b16_e32 v24, 4, v65
	v_lshl_add_u64 v[26:27], s[0:1], 0, v[24:25]
	v_lshrrev_b32_e32 v24, 22, v67
	v_mul_lo_u16_e32 v24, 0x44, v24
	v_sub_u16_e32 v73, v66, v24
	v_lshlrev_b16_e32 v24, 4, v73
	s_waitcnt lgkmcnt(0)
	s_barrier
	global_load_dwordx4 v[0:3], v0, s[0:1] offset:528
	v_lshl_add_u64 v[24:25], s[0:1], 0, v[24:25]
	s_movk_i32 s6, 0x79
	global_load_dwordx4 v[32:35], v[26:27], off offset:528
	global_load_dwordx4 v[40:43], v[24:25], off offset:528
	v_mul_lo_u16_sdwa v24, v64, s6 dst_sel:DWORD dst_unused:UNUSED_PAD src0_sel:BYTE_0 src1_sel:DWORD
	v_lshrrev_b16_e32 v24, 13, v24
	v_mul_lo_u16_e32 v24, 0x44, v24
	v_sub_u16_e32 v24, v64, v24
	v_and_b32_e32 v77, 0xff, v24
	v_lshlrev_b32_e32 v24, 4, v77
	global_load_dwordx4 v[24:27], v24, s[0:1] offset:528
	ds_read2_b64 v[48:51], v131 offset1:68
	v_add_u32_e32 v80, 0x800, v131
	v_add_u32_e32 v76, 0x1000, v131
	ds_read_b64 v[70:71], v131 offset:7616
	ds_read2_b64 v[52:55], v131 offset0:136 offset1:204
	v_add_u32_e32 v81, 0x1800, v131
	ds_read2_b64 v[56:59], v80 offset0:16 offset1:84
	ds_read2_b64 v[60:63], v76 offset0:168 offset1:236
	;; [unrolled: 1-line block ×5, first 2 shown]
	s_mov_b32 s6, 0x3f5db3d7
	s_waitcnt lgkmcnt(0)
	s_barrier
	v_lshl_add_u32 v109, v77, 3, v108
	v_lshl_add_u32 v148, v65, 3, v108
	v_lshl_add_u32 v146, v73, 3, v108
	s_mov_b32 s14, 0x3f167918
	v_lshl_add_u32 v77, v138, 3, v108
	v_accvgpr_write_b32 a41, v77
	s_waitcnt vmcnt(3)
	v_pk_mul_f32 v[78:79], v[58:59], v[0:1] op_sel:[0,1]
	v_mov_b32_e32 v90, v3
	v_pk_fma_f32 v[92:93], v[58:59], v[0:1], v[78:79] op_sel:[0,0,1] op_sel_hi:[1,1,0] neg_lo:[0,0,1] neg_hi:[0,0,1]
	v_pk_fma_f32 v[58:59], v[58:59], v[0:1], v[78:79] op_sel:[0,0,1] op_sel_hi:[1,0,0]
	v_pk_mul_f32 v[78:79], v[60:61], v[90:91] op_sel_hi:[1,0]
	v_mov_b32_e32 v93, v59
	v_pk_fma_f32 v[58:59], v[60:61], v[2:3], v[78:79] op_sel:[0,0,1] op_sel_hi:[1,1,0] neg_lo:[0,0,1] neg_hi:[0,0,1]
	v_pk_fma_f32 v[60:61], v[60:61], v[2:3], v[78:79] op_sel:[0,0,1] op_sel_hi:[1,0,0]
	s_waitcnt vmcnt(2)
	v_mov_b32_e32 v94, v35
	v_mov_b32_e32 v59, v61
	v_pk_add_f32 v[60:61], v[48:49], v[92:93]
	v_pk_add_f32 v[78:79], v[92:93], v[58:59]
	;; [unrolled: 1-line block ×3, first 2 shown]
	v_pk_add_f32 v[58:59], v[92:93], v[58:59] neg_lo:[0,1] neg_hi:[0,1]
	v_pk_mul_f32 v[92:93], v[66:67], v[32:33] op_sel:[0,1]
	v_pk_fma_f32 v[48:49], v[78:79], 0.5, v[48:49] op_sel_hi:[1,0,1] neg_lo:[1,0,0] neg_hi:[1,0,0]
	v_pk_mul_f32 v[58:59], v[58:59], s[6:7] op_sel_hi:[1,0]
	s_waitcnt vmcnt(1)
	v_pk_mul_f32 v[78:79], v[68:69], v[40:41] op_sel:[0,1]
	v_mov_b32_e32 v96, v43
	v_pk_fma_f32 v[98:99], v[66:67], v[32:33], v[92:93] op_sel:[0,0,1] op_sel_hi:[1,1,0] neg_lo:[0,0,1] neg_hi:[0,0,1]
	v_pk_fma_f32 v[66:67], v[66:67], v[32:33], v[92:93] op_sel:[0,0,1] op_sel_hi:[1,0,0]
	v_pk_mul_f32 v[92:93], v[84:85], v[94:95] op_sel_hi:[1,0]
	v_pk_add_f32 v[94:95], v[48:49], v[58:59] op_sel:[0,1] op_sel_hi:[1,0]
	v_pk_add_f32 v[48:49], v[48:49], v[58:59] op_sel:[0,1] op_sel_hi:[1,0] neg_lo:[0,1] neg_hi:[0,1]
	v_pk_fma_f32 v[58:59], v[68:69], v[40:41], v[78:79] op_sel:[0,0,1] op_sel_hi:[1,1,0] neg_lo:[0,0,1] neg_hi:[0,0,1]
	v_pk_fma_f32 v[68:69], v[68:69], v[40:41], v[78:79] op_sel:[0,0,1] op_sel_hi:[1,0,0]
	v_pk_mul_f32 v[78:79], v[70:71], v[96:97] op_sel_hi:[1,0]
	v_mov_b32_e32 v99, v67
	v_pk_fma_f32 v[66:67], v[84:85], v[34:35], v[92:93] op_sel:[0,0,1] op_sel_hi:[1,1,0] neg_lo:[0,0,1] neg_hi:[0,0,1]
	v_pk_fma_f32 v[84:85], v[84:85], v[34:35], v[92:93] op_sel:[0,0,1] op_sel_hi:[1,0,0]
	s_waitcnt vmcnt(0)
	v_pk_mul_f32 v[92:93], v[88:89], v[24:25] op_sel:[0,1]
	v_mov_b32_e32 v59, v69
	v_pk_fma_f32 v[68:69], v[70:71], v[42:43], v[78:79] op_sel:[0,0,1] op_sel_hi:[1,1,0] neg_lo:[0,0,1] neg_hi:[0,0,1]
	v_pk_fma_f32 v[70:71], v[70:71], v[42:43], v[78:79] op_sel:[0,0,1] op_sel_hi:[1,0,0]
	v_mov_b32_e32 v67, v85
	v_pk_fma_f32 v[84:85], v[88:89], v[24:25], v[92:93] op_sel:[0,0,1] op_sel_hi:[1,0,0]
	v_mov_b32_e32 v69, v71
	v_pk_fma_f32 v[78:79], v[88:89], v[24:25], v[92:93] op_sel:[0,0,1] op_sel_hi:[1,1,0] neg_lo:[0,0,1] neg_hi:[0,0,1]
	v_pk_add_f32 v[70:71], v[98:99], v[66:67]
	v_pk_add_f32 v[88:89], v[98:99], v[66:67] neg_lo:[0,1] neg_hi:[0,1]
	v_pk_add_f32 v[92:93], v[58:59], v[68:69]
	v_pk_add_f32 v[96:97], v[58:59], v[68:69] neg_lo:[0,1] neg_hi:[0,1]
	v_mov_b32_e32 v84, v27
	v_pk_fma_f32 v[70:71], v[70:71], 0.5, v[54:55] op_sel_hi:[1,0,1] neg_lo:[1,0,0] neg_hi:[1,0,0]
	v_pk_mul_f32 v[88:89], v[88:89], s[6:7] op_sel_hi:[1,0]
	v_pk_fma_f32 v[92:93], v[92:93], 0.5, v[56:57] op_sel_hi:[1,0,1] neg_lo:[1,0,0] neg_hi:[1,0,0]
	v_pk_mul_f32 v[96:97], v[96:97], s[6:7] op_sel_hi:[1,0]
	v_mov_b32_e32 v79, v85
	v_pk_mul_f32 v[84:85], v[82:83], v[84:85] op_sel_hi:[1,0]
	v_pk_add_f32 v[100:101], v[70:71], v[88:89] op_sel:[0,1] op_sel_hi:[1,0] neg_lo:[0,1] neg_hi:[0,1]
	v_pk_add_f32 v[70:71], v[70:71], v[88:89] op_sel:[0,1] op_sel_hi:[1,0]
	v_pk_add_f32 v[88:89], v[92:93], v[96:97] op_sel:[0,1] op_sel_hi:[1,0] neg_lo:[0,1] neg_hi:[0,1]
	v_pk_add_f32 v[92:93], v[92:93], v[96:97] op_sel:[0,1] op_sel_hi:[1,0]
	v_pk_fma_f32 v[96:97], v[82:83], v[26:27], v[84:85] op_sel:[0,0,1] op_sel_hi:[1,1,0] neg_lo:[0,0,1] neg_hi:[0,0,1]
	v_pk_fma_f32 v[82:83], v[82:83], v[26:27], v[84:85] op_sel:[0,0,1] op_sel_hi:[1,0,0]
	v_pk_mul_f32 v[84:85], v[86:87], v[0:1] op_sel:[0,1]
	v_mov_b32_e32 v97, v83
	v_pk_fma_f32 v[102:103], v[86:87], v[0:1], v[84:85] op_sel:[0,0,1] op_sel_hi:[1,1,0] neg_lo:[0,0,1] neg_hi:[0,0,1]
	v_pk_fma_f32 v[84:85], v[86:87], v[0:1], v[84:85] op_sel:[0,0,1] op_sel_hi:[1,0,0]
	v_pk_add_f32 v[82:83], v[52:53], v[78:79]
	v_mov_b32_e32 v103, v85
	v_pk_mul_f32 v[84:85], v[62:63], v[90:91] op_sel_hi:[1,0]
	v_pk_add_f32 v[82:83], v[82:83], v[96:97]
	v_pk_fma_f32 v[86:87], v[62:63], v[2:3], v[84:85] op_sel:[0,0,1] op_sel_hi:[1,1,0] neg_lo:[0,0,1] neg_hi:[0,0,1]
	v_pk_fma_f32 v[62:63], v[62:63], v[2:3], v[84:85] op_sel:[0,0,1] op_sel_hi:[1,0,0]
	s_nop 0
	v_mov_b32_e32 v87, v63
	v_pk_add_f32 v[62:63], v[102:103], v[86:87]
	v_pk_add_f32 v[84:85], v[102:103], v[86:87] neg_lo:[0,1] neg_hi:[0,1]
	v_pk_fma_f32 v[62:63], v[62:63], 0.5, v[50:51] op_sel_hi:[1,0,1] neg_lo:[1,0,0] neg_hi:[1,0,0]
	v_pk_mul_f32 v[84:85], v[84:85], s[6:7] op_sel_hi:[1,0]
	v_pk_add_f32 v[50:51], v[50:51], v[102:103]
	v_pk_add_f32 v[90:91], v[62:63], v[84:85] op_sel:[0,1] op_sel_hi:[1,0] neg_lo:[0,1] neg_hi:[0,1]
	v_pk_add_f32 v[62:63], v[62:63], v[84:85] op_sel:[0,1] op_sel_hi:[1,0]
	v_mov_b32_e32 v85, v49
	v_mov_b32_e32 v49, v95
	v_pk_add_f32 v[50:51], v[50:51], v[86:87]
	ds_write2_b64 v131, v[48:49], v[50:51] offset0:136 offset1:204
	v_mov_b32_e32 v48, v62
	v_mov_b32_e32 v49, v91
	;; [unrolled: 1-line block ×3, first 2 shown]
	ds_write2_b64 v80, v[48:49], v[90:91] offset0:16 offset1:84
	v_pk_add_f32 v[48:49], v[78:79], v[96:97]
	v_pk_add_f32 v[50:51], v[78:79], v[96:97] neg_lo:[0,1] neg_hi:[0,1]
	v_pk_fma_f32 v[48:49], v[48:49], 0.5, v[52:53] op_sel_hi:[1,0,1] neg_lo:[1,0,0] neg_hi:[1,0,0]
	v_pk_mul_f32 v[50:51], v[50:51], s[6:7] op_sel_hi:[1,0]
	v_mov_b32_e32 v84, v94
	v_pk_add_f32 v[52:53], v[48:49], v[50:51] op_sel:[0,1] op_sel_hi:[1,0]
	v_pk_add_f32 v[48:49], v[48:49], v[50:51] op_sel:[0,1] op_sel_hi:[1,0] neg_lo:[0,1] neg_hi:[0,1]
	v_mov_b32_e32 v50, v52
	v_mov_b32_e32 v51, v49
	v_add_u32_e32 v49, 0x800, v109
	ds_write2_b64 v131, v[60:61], v[84:85] offset1:68
	ds_write2_b64 v49, v[82:83], v[50:51] offset0:152 offset1:220
	v_mov_b32_e32 v49, v53
	ds_write_b64 v109, v[48:49] offset:4352
	v_pk_add_f32 v[48:49], v[54:55], v[98:99]
	v_mov_b32_e32 v50, v70
	v_pk_add_f32 v[48:49], v[48:49], v[66:67]
	v_mov_b32_e32 v51, v101
	v_add_u32_e32 v52, 0x1000, v148
	ds_write2_b64 v52, v[48:49], v[50:51] offset0:100 offset1:168
	v_pk_add_f32 v[48:49], v[56:57], v[58:59]
	v_mov_b32_e32 v50, v92
	v_pk_add_f32 v[48:49], v[48:49], v[68:69]
	v_mov_b32_e32 v51, v89
	v_add_u32_e32 v52, 0x1800, v146
	v_mov_b32_e32 v101, v71
	ds_write2_b64 v52, v[48:49], v[50:51] offset0:48 offset1:116
	v_mov_b32_e32 v89, v93
	v_lshlrev_b32_e32 v48, 5, v64
	ds_write_b64 v148, v[100:101] offset:5984
	ds_write_b64 v146, v[88:89] offset:7616
	s_waitcnt lgkmcnt(0)
	s_barrier
	global_load_dwordx4 v[52:55], v48, s[0:1] offset:1616
	s_nop 0
	global_load_dwordx4 v[48:51], v48, s[0:1] offset:1632
	v_lshlrev_b32_e32 v56, 5, v138
	global_load_dwordx4 v[68:71], v56, s[0:1] offset:1616
	global_load_dwordx4 v[64:67], v56, s[0:1] offset:1632
	v_lshlrev_b32_e32 v56, 5, v72
	global_load_dwordx4 v[60:63], v56, s[0:1] offset:1616
	s_nop 0
	global_load_dwordx4 v[56:59], v56, s[0:1] offset:1632
	ds_read2_b64 v[82:85], v80 offset0:16 offset1:84
	ds_read2_b64 v[86:89], v131 offset0:136 offset1:204
	;; [unrolled: 1-line block ×4, first 2 shown]
	ds_read_b64 v[72:73], v131 offset:7616
	s_mov_b32 s6, 0x3f737871
	s_movk_i32 s1, 0x1000
	s_mov_b32 s0, 0x3e9e377a
	s_waitcnt vmcnt(5) lgkmcnt(4)
	v_pk_mul_f32 v[78:79], v[84:85], v[52:53] op_sel:[0,1]
	s_nop 0
	v_pk_fma_f32 v[164:165], v[84:85], v[52:53], v[78:79] op_sel:[0,0,1] op_sel_hi:[1,1,0] neg_lo:[0,0,1] neg_hi:[0,0,1]
	v_pk_fma_f32 v[78:79], v[84:85], v[52:53], v[78:79] op_sel:[0,0,1] op_sel_hi:[1,0,0]
	s_waitcnt vmcnt(3) lgkmcnt(3)
	v_pk_mul_f32 v[174:175], v[88:89], v[68:69] op_sel:[0,1]
	v_mov_b32_e32 v78, v55
	v_mov_b32_e32 v165, v79
	s_waitcnt lgkmcnt(2)
	v_pk_mul_f32 v[78:79], v[90:91], v[78:79] op_sel_hi:[1,0]
	v_pk_fma_f32 v[176:177], v[88:89], v[68:69], v[174:175] op_sel:[0,0,1] op_sel_hi:[1,1,0] neg_lo:[0,0,1] neg_hi:[0,0,1]
	v_pk_fma_f32 v[84:85], v[90:91], v[54:55], v[78:79] op_sel:[0,0,1] op_sel_hi:[1,1,0] neg_lo:[0,0,1] neg_hi:[0,0,1]
	v_pk_fma_f32 v[78:79], v[90:91], v[54:55], v[78:79] op_sel:[0,0,1] op_sel_hi:[1,0,0]
	v_pk_fma_f32 v[88:89], v[88:89], v[68:69], v[174:175] op_sel:[0,0,1] op_sel_hi:[1,0,0]
	v_mov_b32_e32 v85, v79
	s_waitcnt lgkmcnt(1)
	v_pk_mul_f32 v[78:79], v[96:97], v[48:49] op_sel:[0,1]
	v_mov_b32_e32 v88, v71
	v_pk_fma_f32 v[90:91], v[96:97], v[48:49], v[78:79] op_sel:[0,0,1] op_sel_hi:[1,1,0] neg_lo:[0,0,1] neg_hi:[0,0,1]
	v_pk_fma_f32 v[78:79], v[96:97], v[48:49], v[78:79] op_sel:[0,0,1] op_sel_hi:[1,0,0]
	v_pk_add_f32 v[96:97], v[164:165], v[84:85] neg_lo:[0,1] neg_hi:[0,1]
	v_mov_b32_e32 v78, v51
	v_mov_b32_e32 v91, v79
	s_waitcnt lgkmcnt(0)
	v_pk_mul_f32 v[78:79], v[72:73], v[78:79] op_sel_hi:[1,0]
	v_pk_add_f32 v[168:169], v[84:85], v[90:91] neg_lo:[0,1] neg_hi:[0,1]
	v_pk_fma_f32 v[166:167], v[72:73], v[50:51], v[78:79] op_sel:[0,0,1] op_sel_hi:[1,1,0] neg_lo:[0,0,1] neg_hi:[0,0,1]
	v_pk_fma_f32 v[72:73], v[72:73], v[50:51], v[78:79] op_sel:[0,0,1] op_sel_hi:[1,0,0]
	v_mov_b32_e32 v177, v89
	v_mov_b32_e32 v167, v73
	v_pk_add_f32 v[72:73], v[84:85], v[90:91]
	v_pk_add_f32 v[78:79], v[164:165], v[166:167] neg_lo:[0,1] neg_hi:[0,1]
	v_pk_fma_f32 v[72:73], v[72:73], 0.5, v[86:87] op_sel_hi:[1,0,1] neg_lo:[1,0,0] neg_hi:[1,0,0]
	v_pk_add_f32 v[98:99], v[166:167], v[90:91] neg_lo:[0,1] neg_hi:[0,1]
	s_nop 0
	v_pk_add_f32 v[170:171], v[96:97], v[98:99]
	v_pk_fma_f32 v[96:97], v[78:79], s[6:7], v[72:73] op_sel:[1,0,0] op_sel_hi:[0,0,1] neg_lo:[1,0,0] neg_hi:[1,0,0]
	v_pk_fma_f32 v[72:73], v[78:79], s[6:7], v[72:73] op_sel:[1,0,0] op_sel_hi:[0,0,1]
	v_pk_fma_f32 v[72:73], v[168:169], s[14:15], v[72:73] op_sel:[1,0,0] op_sel_hi:[0,0,1]
	v_pk_fma_f32 v[172:173], v[168:169], s[14:15], v[96:97] op_sel:[1,0,0] op_sel_hi:[0,0,1] neg_lo:[1,0,0] neg_hi:[1,0,0]
	v_mov_b32_e32 v96, v172
	v_mov_b32_e32 v97, v73
	v_pk_fma_f32 v[162:163], v[170:171], s[0:1], v[96:97] op_sel_hi:[1,0,1]
	ds_read2_b64 v[96:99], v131 offset1:68
	ds_read2_b64 v[100:103], v80 offset0:152 offset1:220
	ds_read2_b64 v[104:107], v81 offset0:48 offset1:116
	v_add_u32_e32 v73, 0x600, v131
	s_waitcnt lgkmcnt(1)
	v_pk_mul_f32 v[88:89], v[100:101], v[88:89] op_sel_hi:[1,0]
	s_nop 0
	v_pk_fma_f32 v[174:175], v[100:101], v[70:71], v[88:89] op_sel:[0,0,1] op_sel_hi:[1,1,0] neg_lo:[0,0,1] neg_hi:[0,0,1]
	v_pk_fma_f32 v[88:89], v[100:101], v[70:71], v[88:89] op_sel:[0,0,1] op_sel_hi:[1,0,0]
	s_nop 0
	v_mov_b32_e32 v175, v89
	s_waitcnt vmcnt(2)
	v_pk_mul_f32 v[88:89], v[92:93], v[64:65] op_sel:[0,1]
	v_pk_add_f32 v[188:189], v[176:177], v[174:175] neg_lo:[0,1] neg_hi:[0,1]
	v_pk_fma_f32 v[100:101], v[92:93], v[64:65], v[88:89] op_sel:[0,0,1] op_sel_hi:[1,1,0] neg_lo:[0,0,1] neg_hi:[0,0,1]
	v_pk_fma_f32 v[88:89], v[92:93], v[64:65], v[88:89] op_sel:[0,0,1] op_sel_hi:[1,0,0]
	s_nop 0
	v_mov_b32_e32 v88, v67
	v_mov_b32_e32 v101, v89
	s_waitcnt lgkmcnt(0)
	v_pk_mul_f32 v[88:89], v[104:105], v[88:89] op_sel_hi:[1,0]
	v_pk_add_f32 v[184:185], v[174:175], v[100:101] neg_lo:[0,1] neg_hi:[0,1]
	v_pk_fma_f32 v[92:93], v[104:105], v[66:67], v[88:89] op_sel:[0,0,1] op_sel_hi:[1,1,0] neg_lo:[0,0,1] neg_hi:[0,0,1]
	v_pk_fma_f32 v[88:89], v[104:105], v[66:67], v[88:89] op_sel:[0,0,1] op_sel_hi:[1,0,0]
	s_waitcnt vmcnt(1)
	v_pk_mul_f32 v[104:105], v[82:83], v[60:61] op_sel:[0,1]
	v_mov_b32_e32 v93, v89
	v_pk_fma_f32 v[178:179], v[82:83], v[60:61], v[104:105] op_sel:[0,0,1] op_sel_hi:[1,1,0] neg_lo:[0,0,1] neg_hi:[0,0,1]
	v_pk_fma_f32 v[82:83], v[82:83], v[60:61], v[104:105] op_sel:[0,0,1] op_sel_hi:[1,0,0]
	v_pk_add_f32 v[180:181], v[176:177], v[92:93] neg_lo:[0,1] neg_hi:[0,1]
	v_mov_b32_e32 v82, v63
	v_mov_b32_e32 v179, v83
	v_pk_mul_f32 v[82:83], v[102:103], v[82:83] op_sel_hi:[1,0]
	v_pk_add_f32 v[88:89], v[96:97], v[176:177]
	v_pk_fma_f32 v[104:105], v[102:103], v[62:63], v[82:83] op_sel:[0,0,1] op_sel_hi:[1,1,0] neg_lo:[0,0,1] neg_hi:[0,0,1]
	v_pk_fma_f32 v[82:83], v[102:103], v[62:63], v[82:83] op_sel:[0,0,1] op_sel_hi:[1,0,0]
	v_pk_mul_f32 v[182:183], v[180:181], s[6:7] op_sel_hi:[1,0]
	v_mov_b32_e32 v105, v83
	s_waitcnt vmcnt(0)
	v_pk_mul_f32 v[82:83], v[94:95], v[56:57] op_sel:[0,1]
	v_pk_add_f32 v[190:191], v[92:93], v[100:101] neg_lo:[0,1] neg_hi:[0,1]
	v_pk_fma_f32 v[102:103], v[94:95], v[56:57], v[82:83] op_sel:[0,0,1] op_sel_hi:[1,1,0] neg_lo:[0,0,1] neg_hi:[0,0,1]
	v_pk_fma_f32 v[82:83], v[94:95], v[56:57], v[82:83] op_sel:[0,0,1] op_sel_hi:[1,0,0]
	v_pk_add_f32 v[88:89], v[88:89], v[174:175]
	v_mov_b32_e32 v82, v59
	v_mov_b32_e32 v103, v83
	v_pk_mul_f32 v[82:83], v[106:107], v[82:83] op_sel_hi:[1,0]
	v_pk_mul_f32 v[186:187], v[184:185], s[14:15] op_sel_hi:[1,0]
	v_pk_fma_f32 v[94:95], v[106:107], v[58:59], v[82:83] op_sel:[0,0,1] op_sel_hi:[1,1,0] neg_lo:[0,0,1] neg_hi:[0,0,1]
	v_pk_fma_f32 v[82:83], v[106:107], v[58:59], v[82:83] op_sel:[0,0,1] op_sel_hi:[1,0,0]
	v_pk_add_f32 v[106:107], v[174:175], v[100:101]
	v_pk_add_f32 v[188:189], v[188:189], v[190:191]
	v_pk_fma_f32 v[106:107], v[106:107], 0.5, v[96:97] op_sel_hi:[1,0,1] neg_lo:[1,0,0] neg_hi:[1,0,0]
	v_pk_add_f32 v[88:89], v[88:89], v[100:101]
	v_pk_add_f32 v[190:191], v[106:107], v[182:183] op_sel:[0,1] op_sel_hi:[1,0]
	v_pk_add_f32 v[106:107], v[106:107], v[182:183] op_sel:[0,1] op_sel_hi:[1,0] neg_lo:[0,1] neg_hi:[0,1]
	v_pk_add_f32 v[182:183], v[190:191], v[186:187] op_sel:[0,1] op_sel_hi:[1,0]
	v_pk_add_f32 v[190:191], v[176:177], v[92:93]
	v_pk_add_f32 v[88:89], v[88:89], v[92:93]
	v_pk_fma_f32 v[96:97], v[190:191], 0.5, v[96:97] op_sel_hi:[1,0,1] neg_lo:[1,0,0] neg_hi:[1,0,0]
	v_pk_add_f32 v[174:175], v[174:175], v[176:177] neg_lo:[0,1] neg_hi:[0,1]
	v_pk_add_f32 v[92:93], v[100:101], v[92:93] neg_lo:[0,1] neg_hi:[0,1]
	v_pk_mul_f32 v[100:101], v[184:185], s[6:7] op_sel_hi:[1,0]
	v_pk_add_f32 v[92:93], v[174:175], v[92:93]
	v_pk_mul_f32 v[174:175], v[180:181], s[14:15] op_sel_hi:[1,0]
	v_pk_add_f32 v[176:177], v[96:97], v[100:101] op_sel:[0,1] op_sel_hi:[1,0] neg_lo:[0,1] neg_hi:[0,1]
	v_pk_add_f32 v[96:97], v[96:97], v[100:101] op_sel:[0,1] op_sel_hi:[1,0]
	v_mov_b32_e32 v95, v83
	v_pk_add_f32 v[82:83], v[98:99], v[178:179]
	v_pk_add_f32 v[106:107], v[106:107], v[186:187] op_sel:[0,1] op_sel_hi:[1,0] neg_lo:[0,1] neg_hi:[0,1]
	v_pk_add_f32 v[96:97], v[96:97], v[174:175] op_sel:[0,1] op_sel_hi:[1,0] neg_lo:[0,1] neg_hi:[0,1]
	v_pk_add_f32 v[100:101], v[176:177], v[174:175] op_sel:[0,1] op_sel_hi:[1,0]
	v_pk_add_f32 v[82:83], v[82:83], v[104:105]
	v_mov_b32_e32 v186, v182
	v_mov_b32_e32 v187, v107
	;; [unrolled: 1-line block ×4, first 2 shown]
	v_pk_add_f32 v[82:83], v[82:83], v[102:103]
	v_pk_fma_f32 v[186:187], v[188:189], s[0:1], v[186:187] op_sel_hi:[1,0,1]
	v_pk_fma_f32 v[174:175], v[92:93], s[0:1], v[174:175] op_sel_hi:[1,0,1]
	v_mov_b32_e32 v97, v101
	v_mov_b32_e32 v107, v183
	v_pk_add_f32 v[82:83], v[82:83], v[94:95]
	ds_write2_b64 v73, v[186:187], v[174:175] offset0:12 offset1:216
	v_pk_fma_f32 v[92:93], v[92:93], s[0:1], v[96:97] op_sel_hi:[1,0,1]
	v_pk_fma_f32 v[96:97], v[188:189], s[0:1], v[106:107] op_sel_hi:[1,0,1]
	v_add_u32_e32 v73, 0x1200, v77
	ds_write2_b64 v73, v[92:93], v[96:97] offset0:36 offset1:240
	ds_write2_b64 v131, v[88:89], v[82:83] offset1:68
	v_pk_add_f32 v[82:83], v[104:105], v[102:103]
	v_pk_add_f32 v[88:89], v[178:179], v[94:95] neg_lo:[0,1] neg_hi:[0,1]
	v_pk_fma_f32 v[82:83], v[82:83], 0.5, v[98:99] op_sel_hi:[1,0,1] neg_lo:[1,0,0] neg_hi:[1,0,0]
	v_pk_mul_f32 v[92:93], v[88:89], s[6:7] op_sel_hi:[1,0]
	v_pk_add_f32 v[96:97], v[104:105], v[102:103] neg_lo:[0,1] neg_hi:[0,1]
	v_pk_add_f32 v[106:107], v[178:179], v[104:105] neg_lo:[0,1] neg_hi:[0,1]
	;; [unrolled: 1-line block ×3, first 2 shown]
	v_pk_mul_f32 v[100:101], v[96:97], s[14:15] op_sel_hi:[1,0]
	v_pk_add_f32 v[106:107], v[106:107], v[174:175]
	v_pk_add_f32 v[174:175], v[82:83], v[92:93] op_sel:[0,1] op_sel_hi:[1,0]
	v_pk_add_f32 v[82:83], v[82:83], v[92:93] op_sel:[0,1] op_sel_hi:[1,0] neg_lo:[0,1] neg_hi:[0,1]
	v_pk_add_f32 v[92:93], v[174:175], v[100:101] op_sel:[0,1] op_sel_hi:[1,0]
	v_pk_add_f32 v[82:83], v[82:83], v[100:101] op_sel:[0,1] op_sel_hi:[1,0] neg_lo:[0,1] neg_hi:[0,1]
	v_mov_b32_e32 v100, v92
	v_mov_b32_e32 v101, v83
	v_mov_b32_e32 v73, v173
	v_pk_fma_f32 v[100:101], v[106:107], s[0:1], v[100:101] op_sel_hi:[1,0,1]
	v_pk_fma_f32 v[72:73], v[170:171], s[0:1], v[72:73] op_sel_hi:[1,0,1]
	v_pk_add_f32 v[174:175], v[178:179], v[94:95]
	v_mov_b32_e32 v83, v93
	v_pk_add_f32 v[92:93], v[86:87], v[164:165]
	ds_write2_b64 v80, v[100:101], v[72:73] offset0:16 offset1:84
	v_pk_add_f32 v[72:73], v[164:165], v[166:167]
	v_pk_fma_f32 v[98:99], v[174:175], 0.5, v[98:99] op_sel_hi:[1,0,1] neg_lo:[1,0,0] neg_hi:[1,0,0]
	v_pk_mul_f32 v[96:97], v[96:97], s[6:7] op_sel_hi:[1,0]
	v_pk_add_f32 v[92:93], v[92:93], v[84:85]
	v_pk_fma_f32 v[72:73], v[72:73], 0.5, v[86:87] op_sel_hi:[1,0,1] neg_lo:[1,0,0] neg_hi:[1,0,0]
	v_pk_add_f32 v[84:85], v[84:85], v[164:165] neg_lo:[0,1] neg_hi:[0,1]
	v_pk_add_f32 v[86:87], v[90:91], v[166:167] neg_lo:[0,1] neg_hi:[0,1]
	v_pk_add_f32 v[94:95], v[102:103], v[94:95] neg_lo:[0,1] neg_hi:[0,1]
	v_pk_mul_f32 v[88:89], v[88:89], s[14:15] op_sel_hi:[1,0]
	v_pk_add_f32 v[102:103], v[98:99], v[96:97] op_sel:[0,1] op_sel_hi:[1,0] neg_lo:[0,1] neg_hi:[0,1]
	v_pk_add_f32 v[96:97], v[98:99], v[96:97] op_sel:[0,1] op_sel_hi:[1,0]
	v_pk_add_f32 v[84:85], v[84:85], v[86:87]
	v_pk_fma_f32 v[86:87], v[168:169], s[6:7], v[72:73] op_sel:[1,0,0] op_sel_hi:[0,0,1] neg_lo:[1,0,0] neg_hi:[1,0,0]
	v_pk_fma_f32 v[72:73], v[168:169], s[6:7], v[72:73] op_sel:[1,0,0] op_sel_hi:[0,0,1]
	v_pk_add_f32 v[104:105], v[104:105], v[178:179] neg_lo:[0,1] neg_hi:[0,1]
	v_pk_add_f32 v[96:97], v[96:97], v[88:89] op_sel:[0,1] op_sel_hi:[1,0] neg_lo:[0,1] neg_hi:[0,1]
	v_pk_add_f32 v[88:89], v[102:103], v[88:89] op_sel:[0,1] op_sel_hi:[1,0]
	v_pk_fma_f32 v[72:73], v[78:79], s[14:15], v[72:73] op_sel:[1,0,0] op_sel_hi:[0,0,1] neg_lo:[1,0,0] neg_hi:[1,0,0]
	v_pk_fma_f32 v[78:79], v[78:79], s[14:15], v[86:87] op_sel:[1,0,0] op_sel_hi:[0,0,1]
	v_pk_add_f32 v[94:95], v[104:105], v[94:95]
	v_mov_b32_e32 v98, v88
	v_mov_b32_e32 v99, v97
	;; [unrolled: 1-line block ×4, first 2 shown]
	v_pk_fma_f32 v[98:99], v[94:95], s[0:1], v[98:99] op_sel_hi:[1,0,1]
	v_pk_fma_f32 v[86:87], v[84:85], s[0:1], v[86:87] op_sel_hi:[1,0,1]
	v_add_u32_e32 v73, 0xc00, v131
	v_mov_b32_e32 v97, v89
	v_pk_add_f32 v[92:93], v[92:93], v[90:91]
	ds_write2_b64 v73, v[98:99], v[86:87] offset0:92 offset1:160
	v_mov_b32_e32 v73, v79
	v_pk_fma_f32 v[88:89], v[94:95], s[0:1], v[96:97] op_sel_hi:[1,0,1]
	v_pk_add_f32 v[92:93], v[92:93], v[166:167]
	v_pk_fma_f32 v[72:73], v[84:85], s[0:1], v[72:73] op_sel_hi:[1,0,1]
	v_pk_fma_f32 v[82:83], v[106:107], s[0:1], v[82:83] op_sel_hi:[1,0,1]
	ds_write_b64 v131, v[92:93] offset:1088
	ds_write2_b64 v76, v[88:89], v[72:73] offset0:168 offset1:236
	ds_write2_b64 v81, v[82:83], v[162:163] offset0:116 offset1:184
	v_add_co_u32_e32 v72, vcc, s1, v74
	s_waitcnt lgkmcnt(0)
	s_nop 0
	v_addc_co_u32_e32 v73, vcc, 0, v75, vcc
	s_barrier
	global_load_dwordx2 v[78:79], v[72:73], off offset:4064
	s_mov_b64 s[0:1], 0x1fe0
	v_lshl_add_u64 v[72:73], v[74:75], 0, s[0:1]
	global_load_dwordx2 v[90:91], v[72:73], off offset:4080
	global_load_dwordx2 v[92:93], v[72:73], off offset:544
	s_movk_i32 s0, 0x3000
	v_add_co_u32_e32 v74, vcc, s0, v74
	s_nop 1
	v_addc_co_u32_e32 v75, vcc, 0, v75, vcc
	global_load_dwordx2 v[94:95], v[74:75], off offset:496
	global_load_dwordx2 v[96:97], v[72:73], off offset:1088
	;; [unrolled: 1-line block ×10, first 2 shown]
	s_nop 0
	global_load_dwordx2 v[74:75], v[74:75], off offset:3216
	ds_read2_b64 v[82:85], v131 offset1:68
	ds_read2_b64 v[86:89], v80 offset0:152 offset1:254
	s_waitcnt vmcnt(13) lgkmcnt(1)
	v_mul_f32_e32 v77, v83, v79
	v_fma_f32 v170, v82, v78, -v77
	v_mul_f32_e32 v171, v82, v79
	s_waitcnt vmcnt(12) lgkmcnt(0)
	v_mul_f32_e32 v77, v89, v91
	v_fmac_f32_e32 v171, v83, v78
	v_fma_f32 v78, v88, v90, -v77
	v_mul_f32_e32 v79, v88, v91
	s_waitcnt vmcnt(11)
	v_mul_f32_e32 v77, v85, v93
	v_mul_f32_e32 v83, v84, v93
	v_fmac_f32_e32 v79, v89, v90
	v_fma_f32 v82, v84, v92, -v77
	ds_read2_b64 v[88:91], v76 offset0:66 offset1:134
	v_fmac_f32_e32 v83, v85, v92
	ds_write2_b64 v131, v[170:171], v[82:83] offset1:68
	ds_read2_b64 v[82:85], v131 offset0:136 offset1:204
	s_waitcnt vmcnt(10) lgkmcnt(2)
	v_mul_f32_e32 v77, v89, v95
	v_fma_f32 v92, v88, v94, -v77
	v_mul_f32_e32 v93, v88, v95
	s_waitcnt vmcnt(9) lgkmcnt(0)
	v_mul_f32_e32 v77, v83, v97
	v_mul_f32_e32 v95, v82, v97
	v_fmac_f32_e32 v93, v89, v94
	v_fma_f32 v94, v82, v96, -v77
	v_fmac_f32_e32 v95, v83, v96
	s_waitcnt vmcnt(8)
	v_mul_f32_e32 v77, v91, v99
	v_mul_f32_e32 v83, v90, v99
	v_fma_f32 v82, v90, v98, -v77
	v_fmac_f32_e32 v83, v91, v98
	s_waitcnt vmcnt(7)
	v_mul_f32_e32 v77, v85, v101
	ds_write2_b64 v76, v[92:93], v[82:83] offset0:66 offset1:134
	v_fma_f32 v82, v84, v100, -v77
	v_add_u32_e32 v77, 0x1400, v131
	v_mul_f32_e32 v83, v84, v101
	ds_read2_b64 v[88:91], v77 offset0:74 offset1:142
	v_fmac_f32_e32 v83, v85, v100
	ds_write2_b64 v131, v[94:95], v[82:83] offset0:136 offset1:204
	ds_read2_b64 v[82:85], v80 offset0:16 offset1:84
	s_waitcnt vmcnt(6) lgkmcnt(2)
	v_mul_f32_e32 v92, v89, v103
	v_fma_f32 v92, v88, v102, -v92
	v_mul_f32_e32 v93, v88, v103
	s_waitcnt vmcnt(5) lgkmcnt(0)
	v_mul_f32_e32 v88, v83, v105
	v_mul_f32_e32 v95, v82, v105
	v_fma_f32 v94, v82, v104, -v88
	v_fmac_f32_e32 v95, v83, v104
	s_waitcnt vmcnt(4)
	v_mul_f32_e32 v82, v91, v107
	v_mul_f32_e32 v83, v90, v107
	v_fmac_f32_e32 v93, v89, v102
	v_fma_f32 v82, v90, v106, -v82
	v_fmac_f32_e32 v83, v91, v106
	ds_read2_b64 v[88:91], v81 offset0:82 offset1:150
	ds_write2_b64 v77, v[92:93], v[82:83] offset0:74 offset1:142
	s_waitcnt vmcnt(3)
	v_mul_f32_e32 v82, v85, v165
	v_mul_f32_e32 v83, v84, v165
	v_fma_f32 v82, v84, v164, -v82
	v_fmac_f32_e32 v83, v85, v164
	s_waitcnt vmcnt(1)
	v_mul_f32_e32 v84, v87, v169
	v_mul_f32_e32 v85, v86, v169
	v_fma_f32 v84, v86, v168, -v84
	v_fmac_f32_e32 v85, v87, v168
	ds_write2_b64 v80, v[94:95], v[82:83] offset0:16 offset1:84
	s_waitcnt lgkmcnt(2)
	v_mul_f32_e32 v82, v89, v167
	v_mul_f32_e32 v83, v88, v167
	ds_write2_b64 v80, v[84:85], v[78:79] offset0:152 offset1:254
	s_waitcnt vmcnt(0)
	v_mul_f32_e32 v78, v91, v75
	v_mul_f32_e32 v79, v90, v75
	v_fma_f32 v82, v88, v166, -v82
	v_fmac_f32_e32 v83, v89, v166
	v_fma_f32 v78, v90, v74, -v78
	v_fmac_f32_e32 v79, v91, v74
	ds_write2_b64 v81, v[82:83], v[78:79] offset0:82 offset1:150
	s_and_saveexec_b64 s[0:1], s[4:5]
	s_cbranch_execz .LBB0_17
; %bb.16:
	global_load_dwordx2 v[74:75], v[72:73], off offset:3808
	v_add_co_u32_e32 v72, vcc, 0x1000, v72
	s_nop 1
	v_addc_co_u32_e32 v73, vcc, 0, v73, vcc
	global_load_dwordx2 v[72:73], v[72:73], off offset:3792
	ds_read_b64 v[78:79], v131 offset:3808
	ds_read_b64 v[82:83], v131 offset:7888
	s_waitcnt vmcnt(1) lgkmcnt(1)
	v_mul_f32_e32 v84, v79, v75
	v_mul_f32_e32 v85, v78, v75
	v_fma_f32 v84, v78, v74, -v84
	v_fmac_f32_e32 v85, v79, v74
	ds_write_b64 v131, v[84:85] offset:3808
	s_waitcnt vmcnt(0) lgkmcnt(1)
	v_mul_f32_e32 v74, v83, v73
	v_mul_f32_e32 v75, v82, v73
	v_fma_f32 v74, v82, v72, -v74
	v_fmac_f32_e32 v75, v83, v72
	ds_write_b64 v131, v[74:75] offset:7888
.LBB0_17:
	s_or_b64 exec, exec, s[0:1]
	s_waitcnt lgkmcnt(0)
	s_barrier
	ds_read2_b64 v[104:107], v131 offset1:68
	ds_read2_b64 v[72:75], v80 offset0:152 offset1:254
	ds_read2_b64 v[86:89], v76 offset0:66 offset1:134
	;; [unrolled: 1-line block ×6, first 2 shown]
	s_and_saveexec_b64 s[0:1], s[4:5]
	s_cbranch_execz .LBB0_19
; %bb.18:
	ds_read_b64 v[162:163], v131 offset:3808
	ds_read_b64 v[160:161], v131 offset:7888
.LBB0_19:
	s_or_b64 exec, exec, s[0:1]
	s_waitcnt lgkmcnt(5)
	v_pk_add_f32 v[74:75], v[104:105], v[74:75] neg_lo:[0,1] neg_hi:[0,1]
	s_waitcnt lgkmcnt(3)
	v_pk_add_f32 v[90:91], v[82:83], v[88:89] neg_lo:[0,1] neg_hi:[0,1]
	;; [unrolled: 2-line block ×3, first 2 shown]
	v_pk_add_f32 v[98:99], v[106:107], v[86:87] neg_lo:[0,1] neg_hi:[0,1]
	v_pk_fma_f32 v[88:89], v[82:83], 2.0, v[90:91] op_sel_hi:[1,0,1] neg_lo:[0,0,1] neg_hi:[0,0,1]
	v_pk_add_f32 v[82:83], v[84:85], v[76:77] neg_lo:[0,1] neg_hi:[0,1]
	v_pk_add_f32 v[86:87], v[102:103], v[92:93] neg_lo:[0,1] neg_hi:[0,1]
	v_pk_fma_f32 v[92:93], v[72:73], 2.0, v[94:95] op_sel_hi:[1,0,1] neg_lo:[0,0,1] neg_hi:[0,0,1]
	v_pk_fma_f32 v[72:73], v[104:105], 2.0, v[74:75] op_sel_hi:[1,0,1] neg_lo:[0,0,1] neg_hi:[0,0,1]
	v_accvgpr_read_b32 v104, a0
	v_pk_fma_f32 v[96:97], v[106:107], 2.0, v[98:99] op_sel_hi:[1,0,1] neg_lo:[0,0,1] neg_hi:[0,0,1]
	v_pk_fma_f32 v[80:81], v[84:85], 2.0, v[82:83] op_sel_hi:[1,0,1] neg_lo:[0,0,1] neg_hi:[0,0,1]
	v_pk_add_f32 v[78:79], v[100:101], v[78:79] neg_lo:[0,1] neg_hi:[0,1]
	s_barrier
	ds_write_b128 v111, v[72:75]
	ds_write_b128 v113, v[96:99]
	ds_write_b128 v104, v[88:91]
	v_accvgpr_read_b32 v104, a1
	v_pk_fma_f32 v[76:77], v[100:101], 2.0, v[78:79] op_sel_hi:[1,0,1] neg_lo:[0,0,1] neg_hi:[0,0,1]
	ds_write_b128 v104, v[80:83]
	v_accvgpr_read_b32 v104, a2
	v_pk_fma_f32 v[84:85], v[102:103], 2.0, v[86:87] op_sel_hi:[1,0,1] neg_lo:[0,0,1] neg_hi:[0,0,1]
	v_pk_add_f32 v[102:103], v[162:163], v[160:161] neg_lo:[0,1] neg_hi:[0,1]
	ds_write_b128 v104, v[76:79]
	v_accvgpr_read_b32 v104, a3
	v_pk_fma_f32 v[100:101], v[162:163], 2.0, v[102:103] op_sel_hi:[1,0,1] neg_lo:[0,0,1] neg_hi:[0,0,1]
	ds_write_b128 v104, v[84:87]
	v_accvgpr_read_b32 v104, a4
	ds_write_b128 v104, v[92:95]
	s_and_saveexec_b64 s[0:1], s[4:5]
	s_cbranch_execz .LBB0_21
; %bb.20:
	ds_write_b128 v110, v[100:103]
.LBB0_21:
	s_or_b64 exec, exec, s[0:1]
	s_waitcnt lgkmcnt(0)
	s_barrier
	s_and_saveexec_b64 s[0:1], s[2:3]
	s_cbranch_execz .LBB0_23
; %bb.22:
	v_add_u32_e32 v76, 0x400, v131
	ds_read2_b64 v[72:75], v131 offset1:60
	ds_read2_b64 v[96:99], v131 offset0:120 offset1:180
	ds_read2_b64 v[88:91], v76 offset0:112 offset1:172
	v_add_u32_e32 v76, 0x800, v131
	ds_read2_b64 v[80:83], v76 offset0:104 offset1:164
	v_add_u32_e32 v76, 0xc00, v131
	v_add_u32_e32 v84, 0x1000, v131
	;; [unrolled: 1-line block ×4, first 2 shown]
	ds_read2_b64 v[76:79], v76 offset0:96 offset1:156
	ds_read2_b64 v[84:87], v84 offset0:88 offset1:148
	ds_read2_b64 v[92:95], v92 offset0:80 offset1:140
	ds_read2_b64 v[100:103], v100 offset0:72 offset1:132
	ds_read_b64 v[158:159], v131 offset:7680
.LBB0_23:
	s_or_b64 exec, exec, s[0:1]
	s_waitcnt lgkmcnt(8)
	v_pk_mul_f32 v[104:105], v[36:37], v[74:75]
	v_mov_b32_e32 v160, v37
	v_mov_b32_e32 v104, v105
	v_pk_fma_f32 v[104:105], v[36:37], v[74:75], v[104:105]
	v_mov_b32_e32 v106, v75
	v_pk_mul_f32 v[74:75], v[160:161], v[74:75]
	v_mov_b32_e32 v160, v39
	v_pk_fma_f32 v[106:107], v[36:37], v[106:107], v[74:75] neg_lo:[0,0,1] neg_hi:[0,0,1]
	s_waitcnt lgkmcnt(7)
	v_pk_mul_f32 v[36:37], v[38:39], v[96:97]
	s_mov_b32 s24, 0x3f65296c
	v_mov_b32_e32 v36, v37
	v_pk_fma_f32 v[74:75], v[38:39], v[96:97], v[36:37]
	v_mov_b32_e32 v36, v97
	v_pk_mul_f32 v[96:97], v[160:161], v[96:97]
	s_mov_b32 s25, 0x3ee437d1
	v_pk_fma_f32 v[176:177], v[38:39], v[36:37], v[96:97] neg_lo:[0,0,1] neg_hi:[0,0,1]
	v_pk_mul_f32 v[36:37], v[28:29], v[98:99]
	v_mov_b32_e32 v38, v29
	v_mov_b32_e32 v36, v37
	v_pk_fma_f32 v[170:171], v[28:29], v[98:99], v[36:37]
	v_mov_b32_e32 v36, v99
	v_pk_mul_f32 v[38:39], v[38:39], v[98:99]
	s_waitcnt lgkmcnt(0)
	v_pk_mul_f32 v[96:97], v[46:47], v[158:159] op_sel:[0,1]
	v_pk_fma_f32 v[178:179], v[28:29], v[36:37], v[38:39] neg_lo:[0,0,1] neg_hi:[0,0,1]
	v_pk_mul_f32 v[28:29], v[30:31], v[88:89]
	v_mov_b32_e32 v36, v31
	v_mov_b32_e32 v28, v29
	v_pk_fma_f32 v[98:99], v[30:31], v[88:89], v[28:29]
	v_mov_b32_e32 v28, v89
	v_pk_mul_f32 v[36:37], v[36:37], v[88:89]
	v_pk_mul_f32 v[38:39], v[14:15], v[100:101] op_sel:[0,1]
	v_pk_fma_f32 v[182:183], v[30:31], v[28:29], v[36:37] neg_lo:[0,0,1] neg_hi:[0,0,1]
	v_pk_mul_f32 v[28:29], v[8:9], v[90:91]
	v_mov_b32_e32 v30, v9
	v_mov_b32_e32 v28, v29
	v_pk_fma_f32 v[180:181], v[8:9], v[90:91], v[28:29]
	v_mov_b32_e32 v28, v91
	v_pk_mul_f32 v[30:31], v[30:31], v[90:91]
	;; [unrolled: 8-line block ×4, first 2 shown]
	v_pk_mul_f32 v[28:29], v[16:17], v[86:87] op_sel:[0,1]
	v_pk_fma_f32 v[82:83], v[4:5], v[8:9], v[10:11] neg_lo:[0,0,1] neg_hi:[0,0,1]
	v_pk_mul_f32 v[4:5], v[6:7], v[76:77] op_sel:[0,1]
	v_pk_mul_f32 v[8:9], v[20:21], v[78:79] op_sel:[0,1]
	;; [unrolled: 1-line block ×4, first 2 shown]
	v_pk_fma_f32 v[192:193], v[6:7], v[76:77], v[4:5] op_sel:[0,0,1] op_sel_hi:[1,0,0]
	v_pk_fma_f32 v[194:195], v[6:7], v[76:77], v[4:5] op_sel:[0,0,1] op_sel_hi:[1,0,0] neg_lo:[1,0,0] neg_hi:[1,0,0]
	v_pk_fma_f32 v[76:77], v[20:21], v[78:79], v[8:9] op_sel:[0,0,1] op_sel_hi:[1,0,0]
	v_pk_fma_f32 v[204:205], v[20:21], v[78:79], v[8:9] op_sel:[0,0,1] op_sel_hi:[1,0,0] neg_lo:[1,0,0] neg_hi:[1,0,0]
	;; [unrolled: 2-line block ×9, first 2 shown]
	s_mov_b32 s52, 0xbf65296c
	v_mov_b32_e32 v103, v5
	v_mov_b32_e32 v4, v104
	v_mov_b32_e32 v5, v106
	v_pk_add_f32 v[22:23], v[4:5], v[102:103] neg_lo:[0,1] neg_hi:[0,1]
	v_pk_add_f32 v[18:19], v[102:103], v[4:5]
	s_mov_b32 s0, s25
	v_pk_mul_f32 v[4:5], v[22:23], s[52:53] op_sel_hi:[1,0]
	v_pk_add_f32 v[6:7], v[98:99], v[92:93] neg_lo:[0,1] neg_hi:[0,1]
	v_pk_fma_f32 v[158:159], v[18:19], s[0:1], v[4:5] op_sel:[0,0,1] op_sel_hi:[1,0,0] neg_lo:[0,0,1] neg_hi:[0,0,1]
	v_pk_fma_f32 v[160:161], v[18:19], s[0:1], v[4:5] op_sel:[0,0,1] op_sel_hi:[1,0,0]
	v_mov_b32_e32 v4, v158
	v_mov_b32_e32 v5, v161
	v_pk_add_f32 v[44:45], v[72:73], v[4:5]
	v_pk_add_f32 v[4:5], v[98:99], v[92:93]
	v_pk_add_f32 v[20:21], v[182:183], v[202:203] op_sel:[0,1] neg_lo:[0,1] neg_hi:[0,1]
	v_mov_b32_e32 v5, v6
	v_pk_add_f32 v[6:7], v[182:183], v[202:203] op_sel_hi:[0,1]
	v_mov_b32_e32 v21, v7
	v_pk_add_f32 v[6:7], v[180:181], v[86:87]
	v_pk_add_f32 v[8:9], v[180:181], v[86:87] neg_lo:[0,1] neg_hi:[0,1]
	v_pk_add_f32 v[28:29], v[190:191], v[200:201] op_sel:[0,1] neg_lo:[0,1] neg_hi:[0,1]
	v_mov_b32_e32 v7, v8
	v_pk_add_f32 v[8:9], v[190:191], v[200:201] op_sel_hi:[0,1]
	v_mov_b32_e32 v29, v9
	v_pk_add_f32 v[8:9], v[90:91], v[84:85]
	v_pk_add_f32 v[10:11], v[90:91], v[84:85] neg_lo:[0,1] neg_hi:[0,1]
	;; [unrolled: 6-line block ×3, first 2 shown]
	v_pk_add_f32 v[36:37], v[82:83], v[196:197] op_sel:[0,1] neg_lo:[0,1] neg_hi:[0,1]
	v_mov_b32_e32 v11, v12
	v_pk_add_f32 v[12:13], v[82:83], v[196:197] op_sel_hi:[0,1]
	s_mov_b32 s30, 0x3f2c7751
	v_mov_b32_e32 v37, v13
	v_pk_add_f32 v[12:13], v[192:193], v[76:77]
	v_pk_add_f32 v[14:15], v[192:193], v[76:77] neg_lo:[0,1] neg_hi:[0,1]
	s_mov_b32 s31, 0x3f3d2fb0
	v_mov_b32_e32 v13, v14
	v_pk_add_f32 v[14:15], v[194:195], v[204:205] neg_lo:[0,1] neg_hi:[0,1]
	v_pk_add_f32 v[38:39], v[194:195], v[204:205]
	v_mov_b32_e32 v14, v23
	v_mov_b32_e32 v38, v15
	;; [unrolled: 1-line block ×3, first 2 shown]
	s_mov_b32 s56, 0xbf2c7751
	s_mov_b32 s57, s31
	v_pk_mul_f32 v[210:211], v[14:15], s[56:57]
	v_mov_b32_e32 v254, v18
	v_mov_b32_e32 v255, v22
	s_mov_b32 s16, s31
	s_mov_b32 s17, s56
	v_pk_fma_f32 v[14:15], v[254:255], s[16:17], v[210:211] neg_lo:[0,0,1] neg_hi:[0,0,1]
	v_pk_fma_f32 v[212:213], v[254:255], s[16:17], v[210:211]
	v_pk_add_f32 v[88:89], v[74:75], v[100:101] neg_lo:[0,1] neg_hi:[0,1]
	v_mov_b32_e32 v15, v213
	v_pk_add_f32 v[16:17], v[72:73], v[14:15]
	v_pk_add_f32 v[14:15], v[74:75], v[100:101]
	s_mov_b32 s48, 0xbf7ee86f
	v_mov_b32_e32 v15, v88
	v_pk_add_f32 v[88:89], v[176:177], v[208:209] op_sel:[0,1] neg_lo:[0,1] neg_hi:[0,1]
	v_pk_add_f32 v[96:97], v[176:177], v[208:209] op_sel_hi:[0,1]
	s_mov_b32 s49, 0x3dbcf732
	v_mov_b32_e32 v89, v97
	s_mov_b32 s14, s49
	s_mov_b32 s15, s48
	v_pk_mul_f32 v[220:221], v[88:89], s[48:49]
	v_pk_add_f32 v[216:217], v[178:179], v[206:207] op_sel_hi:[0,1]
	v_pk_fma_f32 v[96:97], v[14:15], s[14:15], v[220:221] neg_lo:[0,0,1] neg_hi:[0,0,1]
	v_pk_fma_f32 v[218:219], v[14:15], s[14:15], v[220:221]
	s_mov_b32 s42, 0xbf4c4adb
	v_mov_b32_e32 v97, v219
	v_pk_add_f32 v[214:215], v[96:97], v[16:17]
	v_pk_add_f32 v[16:17], v[170:171], v[94:95]
	v_pk_add_f32 v[96:97], v[170:171], v[94:95] neg_lo:[0,1] neg_hi:[0,1]
	s_mov_b32 s43, 0xbf1a4643
	v_mov_b32_e32 v17, v96
	v_pk_add_f32 v[96:97], v[178:179], v[206:207] op_sel:[0,1] neg_lo:[0,1] neg_hi:[0,1]
	s_mov_b32 s20, s43
	v_mov_b32_e32 v97, v217
	v_pk_mul_f32 v[226:227], v[96:97], s[42:43]
	s_mov_b32 s21, s42
	v_pk_fma_f32 v[216:217], v[16:17], s[20:21], v[226:227] neg_lo:[0,0,1] neg_hi:[0,0,1]
	v_pk_fma_f32 v[228:229], v[16:17], s[20:21], v[226:227]
	s_mov_b32 s50, 0xbf7ba420
	v_mov_b32_e32 v217, v229
	v_pk_add_f32 v[234:235], v[216:217], v[214:215]
	v_pk_mul_f32 v[216:217], v[88:89], s[42:43]
	s_mov_b32 s22, 0x3e3c28d5
	v_pk_fma_f32 v[222:223], v[14:15], s[20:21], v[216:217] neg_lo:[0,0,1] neg_hi:[0,0,1]
	v_pk_fma_f32 v[214:215], v[14:15], s[20:21], v[216:217]
	s_mov_b32 s23, s50
	v_mov_b32_e32 v223, v215
	v_pk_add_f32 v[44:45], v[222:223], v[44:45]
	v_pk_mul_f32 v[222:223], v[96:97], s[22:23]
	s_mov_b32 s51, s22
	v_pk_fma_f32 v[230:231], v[16:17], s[50:51], v[222:223] neg_lo:[0,0,1] neg_hi:[0,0,1]
	v_pk_fma_f32 v[224:225], v[16:17], s[50:51], v[222:223]
	s_mov_b32 s44, 0x3f763a35
	v_mov_b32_e32 v231, v225
	s_mov_b32 s54, 0xbe3c28d5
	s_mov_b32 s55, s50
	;; [unrolled: 1-line block ×3, first 2 shown]
	v_pk_add_f32 v[44:45], v[230:231], v[44:45]
	v_pk_mul_f32 v[230:231], v[20:21], s[54:55]
	s_mov_b32 s22, s50
	s_mov_b32 s23, s54
	v_pk_mul_f32 v[162:163], v[20:21], s[44:45]
	s_mov_b32 s0, s45
	s_mov_b32 s1, s44
	v_pk_fma_f32 v[238:239], v[4:5], s[22:23], v[230:231] neg_lo:[0,0,1] neg_hi:[0,0,1]
	v_pk_fma_f32 v[232:233], v[4:5], s[22:23], v[230:231]
	s_mov_b32 s62, 0x3f06c442
	v_pk_fma_f32 v[46:47], v[4:5], s[0:1], v[162:163] neg_lo:[0,0,1] neg_hi:[0,0,1]
	v_pk_fma_f32 v[164:165], v[4:5], s[0:1], v[162:163]
	s_mov_b32 s40, 0xbeb8f4ab
	v_mov_b32_e32 v239, v233
	s_mov_b32 s63, 0xbf59a7d5
	v_mov_b32_e32 v47, v165
	v_pk_mul_f32 v[166:167], v[28:29], s[30:31]
	s_mov_b32 s6, s31
	s_mov_b32 s7, s30
	;; [unrolled: 1-line block ×3, first 2 shown]
	v_pk_add_f32 v[242:243], v[238:239], v[234:235]
	v_pk_mul_f32 v[234:235], v[28:29], s[62:63]
	s_mov_b32 s36, s63
	s_mov_b32 s37, s62
	v_pk_fma_f32 v[236:237], v[6:7], s[6:7], v[166:167] neg_lo:[0,0,1] neg_hi:[0,0,1]
	v_pk_fma_f32 v[168:169], v[6:7], s[6:7], v[166:167]
	v_pk_mul_f32 v[172:173], v[30:31], s[40:41]
	s_mov_b32 s18, s41
	s_mov_b32 s19, s40
	v_pk_add_f32 v[44:45], v[46:47], v[44:45]
	v_pk_fma_f32 v[46:47], v[6:7], s[36:37], v[234:235] neg_lo:[0,0,1] neg_hi:[0,0,1]
	v_pk_fma_f32 v[238:239], v[6:7], s[36:37], v[234:235]
	v_mov_b32_e32 v237, v169
	v_pk_fma_f32 v[240:241], v[8:9], s[18:19], v[172:173] neg_lo:[0,0,1] neg_hi:[0,0,1]
	v_pk_fma_f32 v[174:175], v[8:9], s[18:19], v[172:173]
	v_pk_mul_f32 v[184:185], v[36:37], s[48:49]
	v_mov_b32_e32 v47, v239
	v_pk_mul_f32 v[244:245], v[30:31], s[44:45]
	v_mov_b32_e32 v241, v175
	v_pk_fma_f32 v[250:251], v[10:11], s[14:15], v[184:185] neg_lo:[0,0,1] neg_hi:[0,0,1]
	v_pk_fma_f32 v[188:189], v[10:11], s[14:15], v[184:185]
	v_pk_add_f32 v[46:47], v[46:47], v[242:243]
	v_pk_add_f32 v[44:45], v[236:237], v[44:45]
	v_pk_fma_f32 v[236:237], v[8:9], s[0:1], v[244:245] neg_lo:[0,0,1] neg_hi:[0,0,1]
	v_pk_fma_f32 v[242:243], v[8:9], s[0:1], v[244:245]
	v_mov_b32_e32 v251, v189
	v_mov_b32_e32 v237, v243
	v_pk_add_f32 v[44:45], v[240:241], v[44:45]
	v_pk_mul_f32 v[246:247], v[36:37], s[24:25]
	s_mov_b32 s38, s25
	s_mov_b32 s39, s24
	;; [unrolled: 1-line block ×4, first 2 shown]
	v_pk_add_f32 v[46:47], v[236:237], v[46:47]
	v_pk_fma_f32 v[236:237], v[10:11], s[38:39], v[246:247] neg_lo:[0,0,1] neg_hi:[0,0,1]
	v_pk_fma_f32 v[248:249], v[10:11], s[38:39], v[246:247]
	v_pk_add_f32 v[110:111], v[250:251], v[44:45]
	v_pk_mul_f32 v[250:251], v[38:39], s[58:59]
	s_mov_b32 s34, s41
	s_mov_b32 s35, s58
	v_mov_b32_e32 v237, v249
	v_pk_fma_f32 v[44:45], v[12:13], s[34:35], v[250:251] neg_lo:[0,0,1] neg_hi:[0,0,1]
	v_pk_fma_f32 v[252:253], v[12:13], s[34:35], v[250:251]
	s_mov_b32 s60, 0xbf06c442
	s_mov_b32 s61, s63
	v_pk_add_f32 v[46:47], v[236:237], v[46:47]
	v_mov_b32_e32 v45, v253
	v_pk_mul_f32 v[236:237], v[38:39], s[60:61]
	s_mov_b32 s28, s63
	s_mov_b32 s29, s60
	v_pk_add_f32 v[44:45], v[44:45], v[46:47]
	v_pk_fma_f32 v[46:47], v[12:13], s[28:29], v[236:237] neg_lo:[0,0,1] neg_hi:[0,0,1]
	v_pk_fma_f32 v[240:241], v[12:13], s[28:29], v[236:237]
	v_accvgpr_write_b32 a42, v44
	v_mov_b32_e32 v47, v241
	v_accvgpr_write_b32 a43, v45
	v_pk_add_f32 v[44:45], v[46:47], v[110:111]
	s_nop 0
	v_accvgpr_write_b32 a44, v44
	v_accvgpr_write_b32 a45, v45
	s_barrier
	s_and_saveexec_b64 s[26:27], s[2:3]
	s_cbranch_execz .LBB0_25
; %bb.24:
	v_mov_b32_e32 v194, v73
	v_pk_add_f32 v[106:107], v[106:107], v[194:195]
	v_pk_add_f32 v[104:105], v[72:73], v[104:105]
	;; [unrolled: 1-line block ×10, first 2 shown]
	v_mov_b32_e32 v91, v186
	v_mov_b32_e32 v75, v106
	v_pk_add_f32 v[74:75], v[90:91], v[74:75]
	v_mov_b32_e32 v81, v82
	v_mov_b32_e32 v193, v195
	v_pk_add_f32 v[74:75], v[80:81], v[74:75]
	v_mov_b32_e32 v77, v205
	v_pk_add_f32 v[74:75], v[192:193], v[74:75]
	;; [unrolled: 2-line block ×7, first 2 shown]
	v_mov_b32_e32 v101, v209
	v_accvgpr_read_b32 v44, a10
	v_pk_add_f32 v[74:75], v[94:95], v[74:75]
	v_mov_b32_e32 v45, v112
	v_mov_b32_e32 v161, v159
	s_mov_b32 s2, s41
	v_pk_mul_f32 v[158:159], v[22:23], s[40:41] op_sel_hi:[1,0]
	v_mul_u32_u24_e32 v44, 34, v44
	v_pk_add_f32 v[74:75], v[100:101], v[74:75]
	v_or_b32_e32 v44, v44, v45
	v_pk_add_f32 v[170:171], v[102:103], v[74:75]
	v_pk_fma_f32 v[78:79], v[18:19], s[2:3], v[158:159] op_sel:[0,0,1] op_sel_hi:[1,0,0]
	v_pk_fma_f32 v[76:77], v[18:19], s[2:3], v[158:159] op_sel:[0,0,1] op_sel_hi:[1,0,0] neg_lo:[0,0,1] neg_hi:[0,0,1]
	v_pk_mul_f32 v[74:75], v[88:89], s[56:57]
	v_lshl_add_u32 v108, v44, 3, v108
	v_accvgpr_write_b32 a47, v79
	v_mov_b32_e32 v79, v77
	v_pk_fma_f32 v[44:45], v[14:15], s[16:17], v[74:75]
	v_pk_fma_f32 v[84:85], v[14:15], s[16:17], v[74:75] neg_lo:[1,0,0] neg_hi:[1,0,0]
	v_pk_add_f32 v[82:83], v[72:73], v[78:79]
	v_mov_b32_e32 v84, v44
	s_mov_b32 s53, s25
	v_pk_add_f32 v[86:87], v[84:85], v[82:83]
	s_mov_b32 s2, s25
	s_mov_b32 s3, s52
	v_pk_mul_f32 v[84:85], v[96:97], s[52:53]
	s_mov_b32 s47, 0xbf763a35
	v_pk_fma_f32 v[82:83], v[16:17], s[2:3], v[84:85]
	v_pk_fma_f32 v[90:91], v[16:17], s[2:3], v[84:85] neg_lo:[1,0,0] neg_hi:[1,0,0]
	s_mov_b32 s66, s47
	v_mov_b32_e32 v90, v82
	v_pk_add_f32 v[92:93], v[90:91], v[86:87]
	v_pk_mul_f32 v[90:91], v[20:21], s[48:49]
	s_mov_b32 s67, s45
	v_pk_fma_f32 v[86:87], v[4:5], s[14:15], v[90:91]
	v_pk_fma_f32 v[94:95], v[4:5], s[14:15], v[90:91] neg_lo:[1,0,0] neg_hi:[1,0,0]
	s_mov_b32 s46, s45
	v_mov_b32_e32 v94, v86
	v_pk_add_f32 v[98:99], v[94:95], v[92:93]
	v_pk_mul_f32 v[94:95], v[28:29], s[66:67]
	v_accvgpr_write_b32 a38, v120
	v_pk_fma_f32 v[92:93], v[6:7], s[46:47], v[94:95]
	v_pk_fma_f32 v[100:101], v[6:7], s[46:47], v[94:95] neg_lo:[1,0,0] neg_hi:[1,0,0]
	v_accvgpr_write_b32 a39, v121
	v_mov_b32_e32 v100, v92
	v_pk_add_f32 v[102:103], v[100:101], v[98:99]
	v_pk_mul_f32 v[100:101], v[30:31], s[42:43]
	v_pk_mul_f32 v[120:121], v[16:17], s[20:21]
	v_pk_fma_f32 v[98:99], v[8:9], s[20:21], v[100:101]
	v_pk_fma_f32 v[104:105], v[8:9], s[20:21], v[100:101] neg_lo:[1,0,0] neg_hi:[1,0,0]
	v_pk_mul_f32 v[46:47], v[4:5], s[22:23]
	v_mov_b32_e32 v104, v98
	v_pk_add_f32 v[106:107], v[104:105], v[102:103]
	v_pk_mul_f32 v[104:105], v[36:37], s[60:61]
	v_accvgpr_write_b32 a8, v132
	v_pk_fma_f32 v[102:103], v[10:11], s[28:29], v[104:105]
	v_pk_fma_f32 v[158:159], v[10:11], s[28:29], v[104:105] neg_lo:[1,0,0] neg_hi:[1,0,0]
	v_pk_add_f32 v[120:121], v[226:227], v[120:121] neg_lo:[0,1] neg_hi:[0,1]
	v_mov_b32_e32 v158, v102
	v_pk_add_f32 v[176:177], v[158:159], v[106:107]
	v_pk_mul_f32 v[158:159], v[38:39], s[54:55]
	v_accvgpr_write_b32 a9, v133
	v_pk_mul_f32 v[132:133], v[6:7], s[36:37]
	v_accvgpr_write_b32 a6, v128
	v_pk_fma_f32 v[106:107], v[12:13], s[22:23], v[158:159]
	v_pk_fma_f32 v[178:179], v[12:13], s[22:23], v[158:159] neg_lo:[1,0,0] neg_hi:[1,0,0]
	v_mov_b32_e32 v229, v121
	v_pk_add_f32 v[120:121], v[230:231], v[46:47] neg_lo:[0,1] neg_hi:[0,1]
	v_accvgpr_write_b32 a7, v129
	v_pk_mul_f32 v[128:129], v[8:9], s[0:1]
	v_accvgpr_write_b32 a12, v136
	v_mov_b32_e32 v178, v106
	v_mov_b32_e32 v233, v121
	v_pk_add_f32 v[120:121], v[234:235], v[132:133] neg_lo:[0,1] neg_hi:[0,1]
	v_pk_mul_f32 v[254:255], v[254:255], s[16:17]
	v_accvgpr_write_b32 a36, v118
	v_accvgpr_write_b32 a2, v124
	;; [unrolled: 1-line block ×3, first 2 shown]
	v_pk_mul_f32 v[136:137], v[10:11], s[38:39]
	v_accvgpr_write_b32 a0, v122
	v_pk_add_f32 v[176:177], v[178:179], v[176:177]
	v_mov_b32_e32 v239, v121
	v_pk_add_f32 v[120:121], v[244:245], v[128:129] neg_lo:[0,1] neg_hi:[0,1]
	v_accvgpr_write_b32 a37, v119
	v_pk_mul_f32 v[118:119], v[14:15], s[14:15]
	v_accvgpr_write_b32 a3, v125
	v_pk_mul_f32 v[124:125], v[14:15], s[20:21]
	v_accvgpr_write_b32 a4, v126
	v_accvgpr_write_b32 a1, v123
	v_pk_mul_f32 v[122:123], v[12:13], s[34:35]
	ds_write2_b64 v108, v[170:171], v[176:177] offset1:2
	v_pk_add_f32 v[170:171], v[210:211], v[254:255] neg_lo:[0,1] neg_hi:[0,1]
	v_mov_b32_e32 v243, v121
	v_pk_add_f32 v[120:121], v[246:247], v[136:137] neg_lo:[0,1] neg_hi:[0,1]
	v_accvgpr_write_b32 a5, v127
	v_pk_mul_f32 v[126:127], v[16:17], s[50:51]
	v_mov_b32_e32 v213, v171
	v_pk_add_f32 v[118:119], v[220:221], v[118:119] neg_lo:[0,1] neg_hi:[0,1]
	v_mov_b32_e32 v249, v121
	v_pk_add_f32 v[120:121], v[250:251], v[122:123] neg_lo:[0,1] neg_hi:[0,1]
	v_pk_add_f32 v[124:125], v[216:217], v[124:125] neg_lo:[0,1] neg_hi:[0,1]
	v_pk_mul_f32 v[110:111], v[4:5], s[0:1]
	v_pk_add_f32 v[170:171], v[72:73], v[212:213]
	v_mov_b32_e32 v219, v119
	v_mov_b32_e32 v253, v121
	v_pk_add_f32 v[120:121], v[72:73], v[160:161]
	v_mov_b32_e32 v215, v125
	v_pk_add_f32 v[124:125], v[222:223], v[126:127] neg_lo:[0,1] neg_hi:[0,1]
	v_pk_mul_f32 v[112:113], v[6:7], s[6:7]
	v_accvgpr_write_b32 a32, v114
	v_pk_add_f32 v[118:119], v[218:219], v[170:171]
	v_pk_add_f32 v[120:121], v[214:215], v[120:121]
	v_mov_b32_e32 v225, v125
	v_pk_add_f32 v[110:111], v[162:163], v[110:111] neg_lo:[0,1] neg_hi:[0,1]
	v_accvgpr_write_b32 a33, v115
	v_pk_mul_f32 v[114:115], v[8:9], s[18:19]
	v_accvgpr_write_b32 a34, v116
	v_pk_add_f32 v[118:119], v[228:229], v[118:119]
	v_pk_add_f32 v[120:121], v[224:225], v[120:121]
	v_mov_b32_e32 v165, v111
	v_pk_add_f32 v[112:113], v[166:167], v[112:113] neg_lo:[0,1] neg_hi:[0,1]
	v_accvgpr_write_b32 a35, v117
	;; [unrolled: 7-line block ×3, first 2 shown]
	v_pk_mul_f32 v[140:141], v[12:13], s[28:29]
	v_pk_add_f32 v[118:119], v[238:239], v[118:119]
	v_pk_add_f32 v[110:111], v[168:169], v[110:111]
	v_mov_b32_e32 v175, v113
	v_pk_add_f32 v[112:113], v[184:185], v[116:117] neg_lo:[0,1] neg_hi:[0,1]
	v_pk_add_f32 v[118:119], v[242:243], v[118:119]
	v_pk_add_f32 v[110:111], v[174:175], v[110:111]
	v_mov_b32_e32 v189, v113
	v_pk_add_f32 v[112:113], v[236:237], v[140:141] neg_lo:[0,1] neg_hi:[0,1]
	v_pk_add_f32 v[118:119], v[248:249], v[118:119]
	v_pk_add_f32 v[110:111], v[188:189], v[110:111]
	v_mov_b32_e32 v241, v113
	v_pk_add_f32 v[118:119], v[252:253], v[118:119]
	v_pk_add_f32 v[110:111], v[240:241], v[110:111]
	ds_write2_b64 v108, v[118:119], v[110:111] offset0:4 offset1:6
	s_mov_b32 s64, s49
	v_pk_mul_f32 v[110:111], v[22:23], s[48:49] op_sel_hi:[1,0]
	v_pk_mul_f32 v[166:167], v[88:89], s[54:55]
	v_pk_fma_f32 v[160:161], v[18:19], s[64:65], v[110:111] op_sel:[0,0,1] op_sel_hi:[1,0,0]
	v_pk_fma_f32 v[162:163], v[18:19], s[64:65], v[110:111] op_sel:[0,0,1] op_sel_hi:[1,0,0] neg_lo:[0,0,1] neg_hi:[0,0,1]
	v_mov_b32_e32 v110, v160
	v_mov_b32_e32 v111, v163
	v_pk_fma_f32 v[164:165], v[14:15], s[22:23], v[166:167]
	v_pk_fma_f32 v[112:113], v[14:15], s[22:23], v[166:167] neg_lo:[1,0,0] neg_hi:[1,0,0]
	v_pk_add_f32 v[110:111], v[72:73], v[110:111]
	v_mov_b32_e32 v112, v164
	v_pk_mul_f32 v[170:171], v[96:97], s[44:45]
	v_pk_add_f32 v[110:111], v[112:113], v[110:111]
	v_pk_fma_f32 v[168:169], v[16:17], s[0:1], v[170:171]
	v_pk_fma_f32 v[112:113], v[16:17], s[0:1], v[170:171] neg_lo:[1,0,0] neg_hi:[1,0,0]
	v_pk_mul_f32 v[174:175], v[20:21], s[58:59]
	v_mov_b32_e32 v112, v168
	v_pk_add_f32 v[110:111], v[112:113], v[110:111]
	v_pk_fma_f32 v[172:173], v[4:5], s[34:35], v[174:175]
	v_pk_fma_f32 v[112:113], v[4:5], s[34:35], v[174:175] neg_lo:[1,0,0] neg_hi:[1,0,0]
	v_pk_mul_f32 v[178:179], v[28:29], s[52:53]
	v_mov_b32_e32 v112, v172
	;; [unrolled: 5-line block ×3, first 2 shown]
	s_mov_b32 s65, 0x3f4c4adb
	v_pk_add_f32 v[110:111], v[112:113], v[110:111]
	v_pk_fma_f32 v[180:181], v[8:9], s[28:29], v[182:183]
	v_pk_fma_f32 v[112:113], v[8:9], s[28:29], v[182:183] neg_lo:[1,0,0] neg_hi:[1,0,0]
	s_mov_b32 s70, s65
	s_mov_b32 s71, s43
	v_mov_b32_e32 v112, v180
	s_mov_b32 s64, s43
	v_pk_mul_f32 v[186:187], v[36:37], s[70:71]
	v_pk_add_f32 v[110:111], v[112:113], v[110:111]
	v_pk_fma_f32 v[184:185], v[10:11], s[64:65], v[186:187]
	v_pk_fma_f32 v[112:113], v[10:11], s[64:65], v[186:187] neg_lo:[1,0,0] neg_hi:[1,0,0]
	v_pk_mul_f32 v[190:191], v[38:39], s[30:31]
	v_mov_b32_e32 v112, v184
	v_pk_add_f32 v[110:111], v[112:113], v[110:111]
	v_pk_fma_f32 v[188:189], v[12:13], s[6:7], v[190:191]
	v_pk_fma_f32 v[112:113], v[12:13], s[6:7], v[190:191] neg_lo:[1,0,0] neg_hi:[1,0,0]
	s_mov_b32 s68, s47
	v_mov_b32_e32 v112, v188
	v_pk_add_f32 v[110:111], v[112:113], v[110:111]
	s_mov_b32 s72, s45
	v_pk_mul_f32 v[112:113], v[22:23], s[68:69] op_sel_hi:[1,0]
	v_pk_mul_f32 v[204:205], v[88:89], s[62:63]
	v_pk_fma_f32 v[206:207], v[18:19], s[72:73], v[112:113] op_sel:[0,0,1] op_sel_hi:[1,0,0]
	v_pk_fma_f32 v[208:209], v[18:19], s[72:73], v[112:113] op_sel:[0,0,1] op_sel_hi:[1,0,0] neg_lo:[0,0,1] neg_hi:[0,0,1]
	v_mov_b32_e32 v112, v206
	v_mov_b32_e32 v113, v209
	v_pk_fma_f32 v[210:211], v[14:15], s[36:37], v[204:205]
	v_pk_fma_f32 v[114:115], v[14:15], s[36:37], v[204:205] neg_lo:[1,0,0] neg_hi:[1,0,0]
	v_pk_mul_f32 v[202:203], v[96:97], s[30:31]
	v_pk_add_f32 v[112:113], v[72:73], v[112:113]
	v_mov_b32_e32 v114, v210
	v_pk_add_f32 v[112:113], v[114:115], v[112:113]
	v_pk_fma_f32 v[212:213], v[16:17], s[6:7], v[202:203]
	v_pk_fma_f32 v[114:115], v[16:17], s[6:7], v[202:203] neg_lo:[1,0,0] neg_hi:[1,0,0]
	v_pk_mul_f32 v[200:201], v[20:21], s[52:53]
	v_mov_b32_e32 v114, v212
	v_pk_add_f32 v[112:113], v[114:115], v[112:113]
	v_pk_fma_f32 v[214:215], v[4:5], s[2:3], v[200:201]
	v_pk_fma_f32 v[114:115], v[4:5], s[2:3], v[200:201] neg_lo:[1,0,0] neg_hi:[1,0,0]
	v_pk_mul_f32 v[196:197], v[28:29], s[54:55]
	s_mov_b32 s53, 0x3f7ee86f
	v_mov_b32_e32 v114, v214
	s_mov_b32 s68, s53
	s_mov_b32 s69, s49
	v_pk_add_f32 v[112:113], v[114:115], v[112:113]
	v_pk_fma_f32 v[216:217], v[6:7], s[22:23], v[196:197]
	v_pk_fma_f32 v[114:115], v[6:7], s[22:23], v[196:197] neg_lo:[1,0,0] neg_hi:[1,0,0]
	s_mov_b32 s52, s49
	v_pk_mul_f32 v[198:199], v[30:31], s[68:69]
	v_mov_b32_e32 v114, v216
	v_pk_add_f32 v[112:113], v[114:115], v[112:113]
	v_pk_fma_f32 v[218:219], v[8:9], s[52:53], v[198:199]
	v_pk_fma_f32 v[114:115], v[8:9], s[52:53], v[198:199] neg_lo:[1,0,0] neg_hi:[1,0,0]
	v_pk_mul_f32 v[194:195], v[36:37], s[40:41]
	v_mov_b32_e32 v114, v218
	v_pk_add_f32 v[112:113], v[114:115], v[112:113]
	v_pk_fma_f32 v[220:221], v[10:11], s[18:19], v[194:195]
	v_pk_fma_f32 v[114:115], v[10:11], s[18:19], v[194:195] neg_lo:[1,0,0] neg_hi:[1,0,0]
	;; [unrolled: 5-line block ×3, first 2 shown]
	s_mov_b32 s62, s43
	v_mov_b32_e32 v114, v222
	v_pk_add_f32 v[112:113], v[114:115], v[112:113]
	ds_write2_b64 v108, v[110:111], v[112:113] offset0:8 offset1:10
	v_pk_mul_f32 v[110:111], v[22:23], s[42:43] op_sel_hi:[1,0]
	v_pk_mul_f32 v[116:117], v[88:89], s[44:45]
	v_pk_fma_f32 v[112:113], v[18:19], s[62:63], v[110:111] op_sel:[0,0,1] op_sel_hi:[1,0,0]
	v_pk_fma_f32 v[110:111], v[18:19], s[62:63], v[110:111] op_sel:[0,0,1] op_sel_hi:[1,0,0] neg_lo:[0,0,1] neg_hi:[0,0,1]
	v_mov_b32_e32 v114, v112
	v_mov_b32_e32 v115, v111
	v_pk_fma_f32 v[118:119], v[14:15], s[0:1], v[116:117]
	v_pk_fma_f32 v[120:121], v[14:15], s[0:1], v[116:117] neg_lo:[1,0,0] neg_hi:[1,0,0]
	v_pk_add_f32 v[114:115], v[72:73], v[114:115]
	v_mov_b32_e32 v120, v118
	v_pk_add_f32 v[114:115], v[120:121], v[114:115]
	v_pk_mul_f32 v[120:121], v[96:97], s[40:41]
	v_accvgpr_write_b32 a50, v74
	v_pk_fma_f32 v[124:125], v[16:17], s[18:19], v[120:121]
	v_pk_fma_f32 v[126:127], v[16:17], s[18:19], v[120:121] neg_lo:[1,0,0] neg_hi:[1,0,0]
	v_accvgpr_write_b32 a51, v75
	v_mov_b32_e32 v126, v124
	v_pk_add_f32 v[114:115], v[126:127], v[114:115]
	v_pk_mul_f32 v[126:127], v[20:21], s[60:61]
	s_mov_b32 s44, s63
	v_pk_fma_f32 v[80:81], v[4:5], s[28:29], v[126:127]
	v_pk_fma_f32 v[132:133], v[4:5], s[28:29], v[126:127] neg_lo:[1,0,0] neg_hi:[1,0,0]
	v_pk_mul_f32 v[232:233], v[88:89], s[24:25]
	v_mov_b32_e32 v132, v80
	v_pk_add_f32 v[114:115], v[132:133], v[114:115]
	v_pk_mul_f32 v[132:133], v[28:29], s[68:69]
	v_pk_fma_f32 v[250:251], v[14:15], s[38:39], v[232:233]
	v_pk_fma_f32 v[78:79], v[6:7], s[52:53], v[132:133]
	v_pk_fma_f32 v[136:137], v[6:7], s[52:53], v[132:133] neg_lo:[1,0,0] neg_hi:[1,0,0]
	v_pk_fma_f32 v[252:253], v[14:15], s[38:39], v[232:233] neg_lo:[1,0,0] neg_hi:[1,0,0]
	v_mov_b32_e32 v136, v78
	v_pk_add_f32 v[114:115], v[136:137], v[114:115]
	v_pk_mul_f32 v[136:137], v[30:31], s[56:57]
	v_pk_mul_f32 v[234:235], v[96:97], s[48:49]
	v_pk_fma_f32 v[74:75], v[8:9], s[16:17], v[136:137]
	v_pk_fma_f32 v[140:141], v[8:9], s[16:17], v[136:137] neg_lo:[1,0,0] neg_hi:[1,0,0]
	v_mov_b32_e32 v252, v250
	v_mov_b32_e32 v140, v74
	v_pk_add_f32 v[114:115], v[140:141], v[114:115]
	v_pk_mul_f32 v[140:141], v[36:37], s[54:55]
	v_pk_fma_f32 v[254:255], v[16:17], s[14:15], v[234:235] neg_lo:[1,0,0] neg_hi:[1,0,0]
	v_pk_fma_f32 v[224:225], v[10:11], s[22:23], v[140:141]
	v_pk_fma_f32 v[226:227], v[10:11], s[22:23], v[140:141] neg_lo:[1,0,0] neg_hi:[1,0,0]
	v_pk_mul_f32 v[236:237], v[20:21], s[70:71]
	v_mov_b32_e32 v226, v224
	v_pk_add_f32 v[114:115], v[226:227], v[114:115]
	v_pk_mul_f32 v[226:227], v[38:39], s[24:25]
	v_accvgpr_write_b32 a30, v142
	v_pk_fma_f32 v[228:229], v[12:13], s[38:39], v[226:227]
	v_pk_fma_f32 v[230:231], v[12:13], s[38:39], v[226:227] neg_lo:[1,0,0] neg_hi:[1,0,0]
	v_accvgpr_write_b32 a31, v143
	v_mov_b32_e32 v230, v228
	v_pk_add_f32 v[114:115], v[230:231], v[114:115]
	v_pk_mul_f32 v[230:231], v[22:23], s[60:61] op_sel_hi:[1,0]
	v_pk_fma_f32 v[142:143], v[4:5], s[64:65], v[236:237]
	v_pk_fma_f32 v[246:247], v[18:19], s[44:45], v[230:231] op_sel:[0,0,1] op_sel_hi:[1,0,0]
	v_pk_fma_f32 v[230:231], v[18:19], s[44:45], v[230:231] op_sel:[0,0,1] op_sel_hi:[1,0,0] neg_lo:[0,0,1] neg_hi:[0,0,1]
	v_mov_b32_e32 v248, v246
	v_mov_b32_e32 v249, v231
	v_pk_add_f32 v[248:249], v[72:73], v[248:249]
	v_pk_mul_f32 v[238:239], v[28:29], s[40:41]
	v_pk_add_f32 v[248:249], v[252:253], v[248:249]
	v_pk_fma_f32 v[252:253], v[16:17], s[14:15], v[234:235]
	v_pk_fma_f32 v[46:47], v[6:7], s[18:19], v[238:239]
	v_mov_b32_e32 v254, v252
	v_pk_add_f32 v[248:249], v[254:255], v[248:249]
	v_pk_fma_f32 v[254:255], v[4:5], s[64:65], v[236:237] neg_lo:[1,0,0] neg_hi:[1,0,0]
	v_pk_mul_f32 v[240:241], v[30:31], s[54:55]
	v_mov_b32_e32 v254, v142
	v_pk_add_f32 v[248:249], v[254:255], v[248:249]
	v_pk_fma_f32 v[254:255], v[6:7], s[18:19], v[238:239] neg_lo:[1,0,0] neg_hi:[1,0,0]
	v_pk_fma_f32 v[128:129], v[8:9], s[22:23], v[240:241]
	v_mov_b32_e32 v254, v46
	v_pk_add_f32 v[248:249], v[254:255], v[248:249]
	v_pk_fma_f32 v[254:255], v[8:9], s[22:23], v[240:241] neg_lo:[1,0,0] neg_hi:[1,0,0]
	v_pk_mul_f32 v[242:243], v[36:37], s[30:31]
	v_mov_b32_e32 v254, v128
	v_accvgpr_write_b32 a10, v134
	v_pk_add_f32 v[248:249], v[254:255], v[248:249]
	v_accvgpr_write_b32 a11, v135
	v_pk_fma_f32 v[134:135], v[10:11], s[6:7], v[242:243]
	v_pk_fma_f32 v[254:255], v[10:11], s[6:7], v[242:243] neg_lo:[1,0,0] neg_hi:[1,0,0]
	v_pk_mul_f32 v[244:245], v[38:39], s[66:67]
	v_mov_b32_e32 v254, v134
	v_pk_add_f32 v[248:249], v[254:255], v[248:249]
	v_pk_fma_f32 v[122:123], v[12:13], s[46:47], v[244:245]
	v_pk_fma_f32 v[254:255], v[12:13], s[46:47], v[244:245] neg_lo:[1,0,0] neg_hi:[1,0,0]
	v_pk_mul_f32 v[22:23], v[22:23], s[54:55] op_sel_hi:[1,0]
	v_mov_b32_e32 v254, v122
	v_pk_add_f32 v[248:249], v[254:255], v[248:249]
	ds_write2_b64 v108, v[114:115], v[248:249] offset0:12 offset1:14
	v_pk_fma_f32 v[114:115], v[18:19], s[50:51], v[22:23] op_sel:[0,0,1] op_sel_hi:[1,0,0]
	v_pk_fma_f32 v[18:19], v[18:19], s[50:51], v[22:23] op_sel:[0,0,1] op_sel_hi:[1,0,0] neg_lo:[0,0,1] neg_hi:[0,0,1]
	v_pk_mul_f32 v[88:89], v[88:89], s[58:59]
	v_mov_b32_e32 v22, v114
	v_mov_b32_e32 v23, v19
	v_pk_fma_f32 v[248:249], v[14:15], s[34:35], v[88:89]
	v_pk_fma_f32 v[254:255], v[14:15], s[34:35], v[88:89] neg_lo:[1,0,0] neg_hi:[1,0,0]
	v_pk_add_f32 v[22:23], v[72:73], v[22:23]
	v_mov_b32_e32 v254, v248
	v_pk_mul_f32 v[96:97], v[96:97], s[60:61]
	v_pk_add_f32 v[22:23], v[254:255], v[22:23]
	v_mov_b32_e32 v46, v138
	v_mov_b32_e32 v74, v139
	v_pk_fma_f32 v[138:139], v[16:17], s[28:29], v[96:97]
	v_pk_fma_f32 v[254:255], v[16:17], s[28:29], v[96:97] neg_lo:[1,0,0] neg_hi:[1,0,0]
	v_pk_mul_f32 v[20:21], v[20:21], s[30:31]
	v_mov_b32_e32 v254, v138
	v_pk_add_f32 v[22:23], v[254:255], v[22:23]
	v_mov_b32_e32 v19, v144
	v_mov_b32_e32 v77, v145
	v_pk_fma_f32 v[144:145], v[4:5], s[6:7], v[20:21]
	v_pk_fma_f32 v[254:255], v[4:5], s[6:7], v[20:21] neg_lo:[1,0,0] neg_hi:[1,0,0]
	v_pk_mul_f32 v[28:29], v[28:29], s[42:43]
	v_mov_b32_e32 v254, v144
	v_accvgpr_write_b32 a49, v45
	v_pk_add_f32 v[22:23], v[254:255], v[22:23]
	v_pk_fma_f32 v[44:45], v[6:7], s[20:21], v[28:29]
	v_pk_fma_f32 v[254:255], v[6:7], s[20:21], v[28:29] neg_lo:[1,0,0] neg_hi:[1,0,0]
	v_pk_mul_f32 v[30:31], v[30:31], s[24:25]
	v_mov_b32_e32 v254, v44
	v_mov_b32_e32 v144, v19
	v_pk_add_f32 v[22:23], v[254:255], v[22:23]
	v_mov_b32_e32 v19, v146
	v_mov_b32_e32 v44, v147
	v_pk_fma_f32 v[146:147], v[8:9], s[38:39], v[30:31]
	v_pk_fma_f32 v[254:255], v[8:9], s[38:39], v[30:31] neg_lo:[1,0,0] neg_hi:[1,0,0]
	v_pk_mul_f32 v[36:37], v[36:37], s[66:67]
	v_mov_b32_e32 v254, v146
	v_mov_b32_e32 v146, v19
	v_pk_add_f32 v[22:23], v[254:255], v[22:23]
	v_mov_b32_e32 v19, v148
	v_mov_b32_e32 v78, v149
	;; [unrolled: 8-line block ×3, first 2 shown]
	v_pk_fma_f32 v[150:151], v[12:13], s[52:53], v[38:39]
	v_pk_fma_f32 v[254:255], v[12:13], s[52:53], v[38:39] neg_lo:[1,0,0] neg_hi:[1,0,0]
	v_pk_fma_f32 v[88:89], v[14:15], s[34:35], v[88:89] neg_lo:[0,0,1] neg_hi:[0,0,1]
	v_mov_b32_e32 v254, v150
	v_mov_b32_e32 v150, v19
	;; [unrolled: 1-line block ×3, first 2 shown]
	v_pk_add_f32 v[18:19], v[72:73], v[18:19]
	v_mov_b32_e32 v89, v249
	v_pk_add_f32 v[18:19], v[88:89], v[18:19]
	v_pk_fma_f32 v[88:89], v[16:17], s[28:29], v[96:97] neg_lo:[0,0,1] neg_hi:[0,0,1]
	v_pk_fma_f32 v[20:21], v[4:5], s[6:7], v[20:21] neg_lo:[0,0,1] neg_hi:[0,0,1]
	v_mov_b32_e32 v89, v139
	v_pk_add_f32 v[18:19], v[88:89], v[18:19]
	v_mov_b32_e32 v21, v145
	v_pk_add_f32 v[18:19], v[20:21], v[18:19]
	v_pk_fma_f32 v[20:21], v[6:7], s[20:21], v[28:29] neg_lo:[0,0,1] neg_hi:[0,0,1]
	v_pk_add_f32 v[22:23], v[254:255], v[22:23]
	v_mov_b32_e32 v21, v45
	v_pk_add_f32 v[18:19], v[20:21], v[18:19]
	v_pk_fma_f32 v[20:21], v[8:9], s[38:39], v[30:31] neg_lo:[0,0,1] neg_hi:[0,0,1]
	v_mov_b32_e32 v231, v247
	v_mov_b32_e32 v21, v147
	v_pk_add_f32 v[18:19], v[20:21], v[18:19]
	v_pk_fma_f32 v[20:21], v[10:11], s[46:47], v[36:37] neg_lo:[0,0,1] neg_hi:[0,0,1]
	v_mov_b32_e32 v111, v113
	;; [unrolled: 4-line block ×3, first 2 shown]
	v_mov_b32_e32 v21, v151
	v_pk_add_f32 v[18:19], v[20:21], v[18:19]
	v_pk_fma_f32 v[20:21], v[14:15], s[38:39], v[232:233] neg_lo:[0,0,1] neg_hi:[0,0,1]
	ds_write2_b64 v108, v[22:23], v[18:19] offset0:16 offset1:18
	v_pk_add_f32 v[18:19], v[72:73], v[230:231]
	v_mov_b32_e32 v21, v251
	v_pk_add_f32 v[18:19], v[20:21], v[18:19]
	v_pk_fma_f32 v[20:21], v[16:17], s[14:15], v[234:235] neg_lo:[0,0,1] neg_hi:[0,0,1]
	v_pk_fma_f32 v[22:23], v[14:15], s[0:1], v[116:117] neg_lo:[0,0,1] neg_hi:[0,0,1]
	v_mov_b32_e32 v21, v253
	v_pk_add_f32 v[18:19], v[20:21], v[18:19]
	v_pk_fma_f32 v[20:21], v[4:5], s[64:65], v[236:237] neg_lo:[0,0,1] neg_hi:[0,0,1]
	v_mov_b32_e32 v23, v119
	v_mov_b32_e32 v21, v143
	v_pk_add_f32 v[18:19], v[20:21], v[18:19]
	v_pk_fma_f32 v[20:21], v[6:7], s[18:19], v[238:239] neg_lo:[0,0,1] neg_hi:[0,0,1]
	v_mov_b32_e32 v163, v161
	;; [unrolled: 4-line block ×3, first 2 shown]
	v_mov_b32_e32 v21, v129
	v_pk_add_f32 v[18:19], v[20:21], v[18:19]
	v_pk_fma_f32 v[20:21], v[10:11], s[6:7], v[242:243] neg_lo:[0,0,1] neg_hi:[0,0,1]
	v_accvgpr_read_b32 v77, a47
	v_mov_b32_e32 v21, v135
	v_pk_add_f32 v[18:19], v[20:21], v[18:19]
	v_pk_fma_f32 v[20:21], v[12:13], s[46:47], v[244:245] neg_lo:[0,0,1] neg_hi:[0,0,1]
	v_accvgpr_read_b32 v115, a33
	v_mov_b32_e32 v21, v123
	v_pk_add_f32 v[18:19], v[20:21], v[18:19]
	v_pk_add_f32 v[20:21], v[72:73], v[110:111]
	v_accvgpr_read_b32 v143, a31
	v_pk_add_f32 v[20:21], v[22:23], v[20:21]
	v_pk_fma_f32 v[22:23], v[16:17], s[18:19], v[120:121] neg_lo:[0,0,1] neg_hi:[0,0,1]
	v_accvgpr_read_b32 v129, a7
	v_mov_b32_e32 v23, v125
	v_pk_add_f32 v[20:21], v[22:23], v[20:21]
	v_pk_fma_f32 v[22:23], v[4:5], s[28:29], v[126:127] neg_lo:[0,0,1] neg_hi:[0,0,1]
	v_accvgpr_read_b32 v135, a11
	v_mov_b32_e32 v23, v81
	;; [unrolled: 4-line block ×6, first 2 shown]
	v_pk_add_f32 v[20:21], v[22:23], v[20:21]
	ds_write2_b64 v108, v[18:19], v[20:21] offset0:20 offset1:22
	v_pk_fma_f32 v[20:21], v[14:15], s[36:37], v[204:205] neg_lo:[0,0,1] neg_hi:[0,0,1]
	v_pk_add_f32 v[18:19], v[72:73], v[208:209]
	v_mov_b32_e32 v21, v211
	v_pk_add_f32 v[18:19], v[20:21], v[18:19]
	v_pk_fma_f32 v[20:21], v[16:17], s[6:7], v[202:203] neg_lo:[0,0,1] neg_hi:[0,0,1]
	v_pk_fma_f32 v[22:23], v[14:15], s[22:23], v[166:167] neg_lo:[0,0,1] neg_hi:[0,0,1]
	v_mov_b32_e32 v21, v213
	v_pk_add_f32 v[18:19], v[20:21], v[18:19]
	v_pk_fma_f32 v[20:21], v[4:5], s[2:3], v[200:201] neg_lo:[0,0,1] neg_hi:[0,0,1]
	v_mov_b32_e32 v23, v165
	v_mov_b32_e32 v21, v215
	v_pk_add_f32 v[18:19], v[20:21], v[18:19]
	v_pk_fma_f32 v[20:21], v[6:7], s[22:23], v[196:197] neg_lo:[0,0,1] neg_hi:[0,0,1]
	v_accvgpr_read_b32 v125, a3
	v_mov_b32_e32 v21, v217
	v_pk_add_f32 v[18:19], v[20:21], v[18:19]
	v_pk_fma_f32 v[20:21], v[8:9], s[52:53], v[198:199] neg_lo:[0,0,1] neg_hi:[0,0,1]
	v_accvgpr_read_b32 v127, a5
	;; [unrolled: 4-line block ×4, first 2 shown]
	v_mov_b32_e32 v21, v223
	v_pk_add_f32 v[18:19], v[20:21], v[18:19]
	v_pk_add_f32 v[20:21], v[72:73], v[162:163]
	v_accvgpr_read_b32 v141, a15
	v_pk_add_f32 v[20:21], v[22:23], v[20:21]
	v_pk_fma_f32 v[22:23], v[16:17], s[0:1], v[170:171] neg_lo:[0,0,1] neg_hi:[0,0,1]
	v_pk_fma_f32 v[16:17], v[16:17], s[2:3], v[84:85] neg_lo:[0,0,1] neg_hi:[0,0,1]
	v_mov_b32_e32 v23, v169
	v_pk_add_f32 v[20:21], v[22:23], v[20:21]
	v_pk_fma_f32 v[22:23], v[4:5], s[34:35], v[174:175] neg_lo:[0,0,1] neg_hi:[0,0,1]
	v_mov_b32_e32 v17, v83
	v_mov_b32_e32 v23, v173
	v_pk_add_f32 v[20:21], v[22:23], v[20:21]
	v_pk_fma_f32 v[22:23], v[6:7], s[2:3], v[178:179] neg_lo:[0,0,1] neg_hi:[0,0,1]
	v_pk_fma_f32 v[4:5], v[4:5], s[14:15], v[90:91] neg_lo:[0,0,1] neg_hi:[0,0,1]
	v_mov_b32_e32 v23, v177
	v_pk_add_f32 v[20:21], v[22:23], v[20:21]
	v_pk_fma_f32 v[22:23], v[8:9], s[28:29], v[182:183] neg_lo:[0,0,1] neg_hi:[0,0,1]
	v_mov_b32_e32 v5, v87
	v_mov_b32_e32 v23, v181
	;; [unrolled: 8-line block ×3, first 2 shown]
	v_pk_add_f32 v[20:21], v[22:23], v[20:21]
	ds_write2_b64 v108, v[18:19], v[20:21] offset0:24 offset1:26
	v_accvgpr_read_b32 v18, a42
	v_accvgpr_read_b32 v20, a44
	;; [unrolled: 1-line block ×4, first 2 shown]
	ds_write2_b64 v108, v[20:21], v[18:19] offset0:28 offset1:30
	v_accvgpr_read_b32 v20, a50
	v_accvgpr_read_b32 v21, a51
	v_pk_fma_f32 v[14:15], v[14:15], s[16:17], v[20:21] neg_lo:[0,0,1] neg_hi:[0,0,1]
	v_pk_add_f32 v[18:19], v[72:73], v[76:77]
	v_accvgpr_read_b32 v15, a49
	v_pk_add_f32 v[14:15], v[14:15], v[18:19]
	v_accvgpr_read_b32 v114, a32
	v_pk_add_f32 v[14:15], v[16:17], v[14:15]
	v_mov_b32_e32 v139, v74
	v_pk_add_f32 v[4:5], v[4:5], v[14:15]
	v_mov_b32_e32 v138, v46
	v_pk_add_f32 v[4:5], v[6:7], v[4:5]
	v_pk_fma_f32 v[6:7], v[8:9], s[20:21], v[100:101] neg_lo:[0,0,1] neg_hi:[0,0,1]
	v_mov_b32_e32 v147, v44
	v_mov_b32_e32 v7, v99
	v_pk_add_f32 v[4:5], v[6:7], v[4:5]
	v_pk_fma_f32 v[6:7], v[10:11], s[28:29], v[104:105] neg_lo:[0,0,1] neg_hi:[0,0,1]
	v_mov_b32_e32 v149, v78
	;; [unrolled: 4-line block ×3, first 2 shown]
	v_mov_b32_e32 v7, v107
	v_accvgpr_read_b32 v142, a30
	v_accvgpr_read_b32 v128, a6
	;; [unrolled: 1-line block ×12, first 2 shown]
	v_pk_add_f32 v[4:5], v[6:7], v[4:5]
	ds_write_b64 v108, v[4:5] offset:256
.LBB0_25:
	s_or_b64 exec, exec, s[26:27]
	v_add_u32_e32 v8, 0x800, v131
	v_add_u32_e32 v9, 0x1000, v131
	s_waitcnt lgkmcnt(0)
	s_barrier
	ds_read2_b64 v[28:31], v131 offset1:68
	ds_read2_b64 v[4:7], v8 offset0:152 offset1:254
	ds_read2_b64 v[36:39], v9 offset0:66 offset1:134
	;; [unrolled: 1-line block ×3, first 2 shown]
	v_add_u32_e32 v9, 0x1400, v131
	ds_read2_b64 v[16:19], v9 offset0:74 offset1:142
	ds_read2_b64 v[12:15], v8 offset0:16 offset1:84
	v_add_u32_e32 v8, 0x1800, v131
	ds_read2_b64 v[8:11], v8 offset0:82 offset1:150
	v_mov_b32_e32 v172, v114
	v_mov_b32_e32 v173, v114
	;; [unrolled: 1-line block ×21, first 2 shown]
	s_and_saveexec_b64 s[0:1], s[4:5]
	s_cbranch_execz .LBB0_27
; %bb.26:
	ds_read_b64 a[44:45], v131 offset:3808
	ds_read_b64 a[42:43], v131 offset:7888
.LBB0_27:
	s_or_b64 exec, exec, s[0:1]
	s_waitcnt lgkmcnt(5)
	v_pk_mul_f32 v[44:45], v[114:115], v[6:7]
	s_waitcnt lgkmcnt(2)
	v_pk_mul_f32 v[112:113], v[120:121], v[16:17]
	v_pk_fma_f32 v[120:121], v[172:173], v[6:7], v[44:45] op_sel:[0,0,1] op_sel_hi:[1,1,0]
	v_pk_fma_f32 v[6:7], v[172:173], v[6:7], v[44:45] op_sel:[0,0,1] op_sel_hi:[1,1,0] neg_lo:[0,0,1] neg_hi:[0,0,1]
	v_pk_mul_f32 v[46:47], v[118:119], v[36:37]
	v_mov_b32_e32 v121, v7
	v_pk_add_f32 v[6:7], v[28:29], v[120:121] neg_lo:[0,1] neg_hi:[0,1]
	s_waitcnt lgkmcnt(0)
	v_pk_fma_f32 v[28:29], v[28:29], 2.0, v[6:7] op_sel_hi:[1,0,1] neg_lo:[0,0,1] neg_hi:[0,0,1]
	s_barrier
	ds_write2_b64 v145, v[28:29], v[6:7] offset1:34
	v_pk_fma_f32 v[6:7], v[170:171], v[36:37], v[46:47] op_sel:[0,0,1] op_sel_hi:[1,1,0]
	v_pk_fma_f32 v[28:29], v[170:171], v[36:37], v[46:47] op_sel:[0,0,1] op_sel_hi:[1,1,0] neg_lo:[0,0,1] neg_hi:[0,0,1]
	v_pk_mul_f32 v[110:111], v[116:117], v[38:39]
	v_mov_b32_e32 v7, v29
	v_pk_add_f32 v[6:7], v[30:31], v[6:7] neg_lo:[0,1] neg_hi:[0,1]
	v_pk_mul_f32 v[114:115], v[152:153], v[18:19]
	v_pk_fma_f32 v[28:29], v[30:31], 2.0, v[6:7] op_sel_hi:[1,0,1] neg_lo:[0,0,1] neg_hi:[0,0,1]
	ds_write2_b64 v144, v[28:29], v[6:7] offset1:34
	v_pk_fma_f32 v[6:7], v[168:169], v[38:39], v[110:111] op_sel:[0,0,1] op_sel_hi:[1,1,0]
	v_pk_fma_f32 v[28:29], v[168:169], v[38:39], v[110:111] op_sel:[0,0,1] op_sel_hi:[1,1,0] neg_lo:[0,0,1] neg_hi:[0,0,1]
	v_pk_mul_f32 v[116:117], v[154:155], v[8:9]
	v_mov_b32_e32 v7, v29
	v_pk_add_f32 v[6:7], v[20:21], v[6:7] neg_lo:[0,1] neg_hi:[0,1]
	v_pk_mul_f32 v[118:119], v[156:157], v[10:11]
	v_pk_fma_f32 v[20:21], v[20:21], 2.0, v[6:7] op_sel_hi:[1,0,1] neg_lo:[0,0,1] neg_hi:[0,0,1]
	ds_write2_b64 v139, v[20:21], v[6:7] offset1:34
	v_pk_fma_f32 v[6:7], v[166:167], v[16:17], v[112:113] op_sel:[0,0,1] op_sel_hi:[1,1,0]
	v_pk_fma_f32 v[16:17], v[166:167], v[16:17], v[112:113] op_sel:[0,0,1] op_sel_hi:[1,1,0] neg_lo:[0,0,1] neg_hi:[0,0,1]
	v_mov_b32_e32 v98, v0
	v_mov_b32_e32 v7, v17
	v_pk_add_f32 v[6:7], v[22:23], v[6:7] neg_lo:[0,1] neg_hi:[0,1]
	v_mov_b32_e32 v99, v0
	v_pk_fma_f32 v[16:17], v[22:23], 2.0, v[6:7] op_sel_hi:[1,0,1] neg_lo:[0,0,1] neg_hi:[0,0,1]
	ds_write2_b64 v147, v[16:17], v[6:7] offset1:34
	v_pk_fma_f32 v[6:7], v[164:165], v[18:19], v[114:115] op_sel:[0,0,1] op_sel_hi:[1,1,0]
	v_pk_fma_f32 v[16:17], v[164:165], v[18:19], v[114:115] op_sel:[0,0,1] op_sel_hi:[1,1,0] neg_lo:[0,0,1] neg_hi:[0,0,1]
	v_mov_b32_e32 v0, v1
	v_mov_b32_e32 v7, v17
	v_pk_add_f32 v[6:7], v[12:13], v[6:7] neg_lo:[0,1] neg_hi:[0,1]
	v_mov_b32_e32 v96, v2
	;; [unrolled: 8-line block ×4, first 2 shown]
	v_mov_b32_e32 v40, v41
	v_mov_b32_e32 v158, v42
	;; [unrolled: 1-line block ×52, first 2 shown]
	v_add_u32_e32 v176, 0x220, v131
	v_add_u32_e32 v108, 0x440, v131
	v_pk_fma_f32 v[4:5], v[4:5], 2.0, v[6:7] op_sel_hi:[1,0,1] neg_lo:[0,0,1] neg_hi:[0,0,1]
	v_accvgpr_read_b32 v8, a40
	ds_write2_b64 v8, v[4:5], v[6:7] offset1:34
	s_and_saveexec_b64 s[0:1], s[4:5]
	s_cbranch_execz .LBB0_29
; %bb.28:
	v_accvgpr_read_b32 v8, a42
	v_accvgpr_read_b32 v9, a43
	v_pk_mul_f32 v[4:5], v[142:143], v[8:9] op_sel:[0,1]
	s_nop 0
	v_pk_fma_f32 v[6:7], v[142:143], v[8:9], v[4:5] op_sel:[0,0,1] op_sel_hi:[1,1,0]
	v_pk_fma_f32 v[4:5], v[142:143], v[8:9], v[4:5] op_sel:[0,0,1] op_sel_hi:[1,0,0] neg_lo:[1,0,0] neg_hi:[1,0,0]
	v_accvgpr_read_b32 v8, a44
	v_mov_b32_e32 v7, v5
	v_accvgpr_read_b32 v9, a45
	v_pk_add_f32 v[4:5], v[8:9], v[6:7] neg_lo:[0,1] neg_hi:[0,1]
	s_nop 0
	v_pk_fma_f32 v[6:7], v[8:9], 2.0, v[4:5] op_sel_hi:[1,0,1] neg_lo:[0,0,1] neg_hi:[0,0,1]
	v_add_u32_e32 v8, 0x1800, v150
	ds_write2_b64 v8, v[6:7], v[4:5] offset0:184 offset1:218
.LBB0_29:
	s_or_b64 exec, exec, s[0:1]
	v_add_u32_e32 v10, 0x800, v131
	s_waitcnt lgkmcnt(0)
	s_barrier
	ds_read2_b64 v[12:15], v10 offset0:16 offset1:84
	v_add_u32_e32 v11, 0x1000, v131
	ds_read2_b64 v[20:23], v11 offset0:168 offset1:236
	ds_read2_b64 v[16:19], v131 offset1:68
	v_mad_u64_u32 v[6:7], s[0:1], s10, v130, 0
	s_waitcnt lgkmcnt(2)
	v_pk_mul_f32 v[28:29], v[0:1], v[14:15]
	s_mov_b32 s0, 0x3f5db3d7
	v_pk_fma_f32 v[30:31], v[98:99], v[14:15], v[28:29] op_sel:[0,0,1] op_sel_hi:[1,1,0]
	v_pk_fma_f32 v[14:15], v[98:99], v[14:15], v[28:29] op_sel:[0,0,1] op_sel_hi:[1,1,0] neg_lo:[0,0,1] neg_hi:[0,0,1]
	v_add_u32_e32 v9, 0x1800, v131
	v_mov_b32_e32 v31, v15
	s_waitcnt lgkmcnt(1)
	v_pk_mul_f32 v[14:15], v[2:3], v[20:21]
	v_mov_b32_e32 v8, v7
	v_pk_fma_f32 v[28:29], v[96:97], v[20:21], v[14:15] op_sel:[0,0,1] op_sel_hi:[1,1,0]
	v_pk_fma_f32 v[14:15], v[96:97], v[20:21], v[14:15] op_sel:[0,0,1] op_sel_hi:[1,1,0] neg_lo:[0,0,1] neg_hi:[0,0,1]
	v_add_u32_e32 v7, 0x1000, v148
	v_mov_b32_e32 v29, v15
	s_waitcnt lgkmcnt(0)
	v_pk_add_f32 v[14:15], v[16:17], v[30:31]
	s_mov_b32 s2, 0x3f737871
	v_pk_add_f32 v[20:21], v[14:15], v[28:29]
	v_pk_add_f32 v[14:15], v[30:31], v[28:29]
	v_pk_add_f32 v[28:29], v[30:31], v[28:29] neg_lo:[0,1] neg_hi:[0,1]
	v_pk_fma_f32 v[36:37], v[14:15], 0.5, v[16:17] op_sel_hi:[1,0,1] neg_lo:[1,0,0] neg_hi:[1,0,0]
	ds_read2_b64 v[14:17], v11 offset0:32 offset1:100
	v_pk_mul_f32 v[28:29], v[28:29], s[0:1] op_sel_hi:[1,0]
	s_mov_b32 s6, 0x3f167918
	v_pk_add_f32 v[44:45], v[36:37], v[28:29] op_sel:[0,1] op_sel_hi:[1,0] neg_lo:[0,1] neg_hi:[0,1]
	v_pk_add_f32 v[46:47], v[36:37], v[28:29] op_sel:[0,1] op_sel_hi:[1,0]
	ds_read_b64 v[28:29], v131 offset:7616
	s_waitcnt lgkmcnt(1)
	v_pk_mul_f32 v[30:31], v[40:41], v[16:17]
	ds_read2_b64 v[36:39], v9 offset0:48 offset1:116
	v_pk_fma_f32 v[40:41], v[160:161], v[16:17], v[30:31] op_sel:[0,0,1] op_sel_hi:[1,1,0]
	v_pk_fma_f32 v[16:17], v[160:161], v[16:17], v[30:31] op_sel:[0,0,1] op_sel_hi:[1,1,0] neg_lo:[0,0,1] neg_hi:[0,0,1]
	v_mov_b32_e32 v4, s12
	v_mov_b32_e32 v41, v17
	s_waitcnt lgkmcnt(1)
	v_pk_mul_f32 v[16:17], v[42:43], v[28:29]
	v_mov_b32_e32 v5, s13
	v_pk_fma_f32 v[42:43], v[158:159], v[28:29], v[16:17] op_sel:[0,0,1] op_sel_hi:[1,1,0]
	v_pk_fma_f32 v[16:17], v[158:159], v[28:29], v[16:17] op_sel:[0,0,1] op_sel_hi:[1,1,0] neg_lo:[0,0,1] neg_hi:[0,0,1]
	s_movk_i32 s12, 0x1000
	v_mov_b32_e32 v43, v17
	v_pk_add_f32 v[16:17], v[40:41], v[42:43]
	v_pk_add_f32 v[28:29], v[40:41], v[42:43] neg_lo:[0,1] neg_hi:[0,1]
	v_pk_fma_f32 v[16:17], v[16:17], 0.5, v[12:13] op_sel_hi:[1,0,1] neg_lo:[1,0,0] neg_hi:[1,0,0]
	v_pk_mul_f32 v[28:29], v[28:29], s[0:1] op_sel_hi:[1,0]
	s_nop 0
	v_pk_add_f32 v[110:111], v[16:17], v[28:29] op_sel:[0,1] op_sel_hi:[1,0]
	v_pk_add_f32 v[112:113], v[16:17], v[28:29] op_sel:[0,1] op_sel_hi:[1,0] neg_lo:[0,1] neg_hi:[0,1]
	v_pk_mul_f32 v[16:17], v[32:33], v[14:15]
	ds_read2_b64 v[28:31], v131 offset0:136 offset1:204
	v_pk_fma_f32 v[32:33], v[106:107], v[14:15], v[16:17] op_sel:[0,0,1] op_sel_hi:[1,1,0]
	v_pk_fma_f32 v[14:15], v[106:107], v[14:15], v[16:17] op_sel:[0,0,1] op_sel_hi:[1,1,0] neg_lo:[0,0,1] neg_hi:[0,0,1]
	s_nop 0
	v_mov_b32_e32 v33, v15
	s_waitcnt lgkmcnt(1)
	v_pk_mul_f32 v[14:15], v[34:35], v[38:39]
	s_nop 0
	v_pk_fma_f32 v[34:35], v[104:105], v[38:39], v[14:15] op_sel:[0,0,1] op_sel_hi:[1,1,0]
	v_pk_fma_f32 v[14:15], v[104:105], v[38:39], v[14:15] op_sel:[0,0,1] op_sel_hi:[1,1,0] neg_lo:[0,0,1] neg_hi:[0,0,1]
	s_nop 0
	v_mov_b32_e32 v35, v15
	v_pk_add_f32 v[14:15], v[32:33], v[34:35]
	v_pk_add_f32 v[104:105], v[32:33], v[34:35] neg_lo:[0,1] neg_hi:[0,1]
	s_waitcnt lgkmcnt(0)
	v_pk_fma_f32 v[38:39], v[14:15], 0.5, v[30:31] op_sel_hi:[1,0,1] neg_lo:[1,0,0] neg_hi:[1,0,0]
	ds_read2_b64 v[14:17], v10 offset0:152 offset1:220
	v_pk_mul_f32 v[104:105], v[104:105], s[0:1] op_sel_hi:[1,0]
	s_waitcnt lgkmcnt(0)
	v_pk_add_f32 v[106:107], v[38:39], v[104:105] op_sel:[0,1] op_sel_hi:[1,0]
	v_pk_add_f32 v[38:39], v[38:39], v[104:105] op_sel:[0,1] op_sel_hi:[1,0] neg_lo:[0,1] neg_hi:[0,1]
	v_pk_mul_f32 v[24:25], v[24:25], v[16:17]
	v_pk_mul_f32 v[0:1], v[0:1], v[14:15]
	v_pk_fma_f32 v[104:105], v[102:103], v[16:17], v[24:25] op_sel:[0,0,1] op_sel_hi:[1,1,0]
	v_pk_fma_f32 v[16:17], v[102:103], v[16:17], v[24:25] op_sel:[0,0,1] op_sel_hi:[1,1,0] neg_lo:[0,0,1] neg_hi:[0,0,1]
	s_barrier
	v_mov_b32_e32 v105, v17
	v_pk_mul_f32 v[16:17], v[26:27], v[36:37]
	v_pk_fma_f32 v[26:27], v[98:99], v[14:15], v[0:1] op_sel:[0,0,1] op_sel_hi:[1,1,0]
	v_pk_fma_f32 v[0:1], v[98:99], v[14:15], v[0:1] op_sel:[0,0,1] op_sel_hi:[1,1,0] neg_lo:[0,0,1] neg_hi:[0,0,1]
	s_nop 0
	v_mov_b32_e32 v27, v1
	v_pk_mul_f32 v[0:1], v[2:3], v[22:23]
	v_pk_fma_f32 v[24:25], v[100:101], v[36:37], v[16:17] op_sel:[0,0,1] op_sel_hi:[1,1,0]
	v_pk_fma_f32 v[2:3], v[96:97], v[22:23], v[0:1] op_sel:[0,0,1] op_sel_hi:[1,1,0]
	v_pk_fma_f32 v[0:1], v[96:97], v[22:23], v[0:1] op_sel:[0,0,1] op_sel_hi:[1,1,0] neg_lo:[0,0,1] neg_hi:[0,0,1]
	v_pk_fma_f32 v[16:17], v[100:101], v[36:37], v[16:17] op_sel:[0,0,1] op_sel_hi:[1,1,0] neg_lo:[0,0,1] neg_hi:[0,0,1]
	v_mov_b32_e32 v3, v1
	v_pk_add_f32 v[0:1], v[26:27], v[2:3]
	v_pk_add_f32 v[14:15], v[26:27], v[2:3] neg_lo:[0,1] neg_hi:[0,1]
	v_pk_fma_f32 v[0:1], v[0:1], 0.5, v[18:19] op_sel_hi:[1,0,1] neg_lo:[1,0,0] neg_hi:[1,0,0]
	v_pk_mul_f32 v[14:15], v[14:15], s[0:1] op_sel_hi:[1,0]
	v_mov_b32_e32 v25, v17
	v_pk_add_f32 v[22:23], v[0:1], v[14:15] op_sel:[0,1] op_sel_hi:[1,0]
	v_pk_add_f32 v[0:1], v[0:1], v[14:15] op_sel:[0,1] op_sel_hi:[1,0] neg_lo:[0,1] neg_hi:[0,1]
	v_mov_b32_e32 v14, v44
	v_mov_b32_e32 v15, v47
	ds_write2_b64 v131, v[20:21], v[14:15] offset1:68
	v_pk_add_f32 v[14:15], v[18:19], v[26:27]
	v_mov_b32_e32 v47, v45
	v_pk_add_f32 v[2:3], v[14:15], v[2:3]
	ds_write2_b64 v131, v[46:47], v[2:3] offset0:136 offset1:204
	v_mov_b32_e32 v2, v0
	v_mov_b32_e32 v3, v23
	;; [unrolled: 1-line block ×3, first 2 shown]
	ds_write2_b64 v10, v[2:3], v[22:23] offset0:16 offset1:84
	v_pk_add_f32 v[0:1], v[104:105], v[24:25]
	v_pk_add_f32 v[2:3], v[104:105], v[24:25] neg_lo:[0,1] neg_hi:[0,1]
	v_pk_fma_f32 v[0:1], v[0:1], 0.5, v[28:29] op_sel_hi:[1,0,1] neg_lo:[1,0,0] neg_hi:[1,0,0]
	v_pk_mul_f32 v[2:3], v[2:3], s[0:1] op_sel_hi:[1,0]
	v_pk_add_f32 v[16:17], v[28:29], v[104:105]
	v_pk_add_f32 v[14:15], v[0:1], v[2:3] op_sel:[0,1] op_sel_hi:[1,0] neg_lo:[0,1] neg_hi:[0,1]
	v_pk_add_f32 v[0:1], v[0:1], v[2:3] op_sel:[0,1] op_sel_hi:[1,0]
	v_pk_add_f32 v[16:17], v[16:17], v[24:25]
	v_mov_b32_e32 v2, v14
	v_mov_b32_e32 v3, v1
	v_add_u32_e32 v1, 0x800, v109
	ds_write2_b64 v1, v[16:17], v[2:3] offset0:152 offset1:220
	v_mov_b32_e32 v1, v15
	ds_write_b64 v109, v[0:1] offset:4352
	v_pk_add_f32 v[0:1], v[30:31], v[32:33]
	v_mov_b32_e32 v2, v38
	v_pk_add_f32 v[0:1], v[0:1], v[34:35]
	v_mov_b32_e32 v3, v107
	ds_write2_b64 v7, v[0:1], v[2:3] offset0:100 offset1:168
	v_pk_add_f32 v[0:1], v[12:13], v[40:41]
	v_mov_b32_e32 v107, v39
	v_pk_add_f32 v[0:1], v[0:1], v[42:43]
	v_mov_b32_e32 v2, v112
	v_mov_b32_e32 v3, v111
	v_add_u32_e32 v7, 0x1800, v146
	v_mov_b32_e32 v111, v113
	ds_write_b64 v148, v[106:107] offset:5984
	ds_write2_b64 v7, v[0:1], v[2:3] offset0:48 offset1:116
	ds_write_b64 v146, v[110:111] offset:7616
	s_waitcnt lgkmcnt(0)
	s_barrier
	ds_read2_b64 v[0:3], v131 offset0:136 offset1:204
	ds_read2_b64 v[12:15], v131 offset1:68
	ds_read2_b64 v[16:19], v10 offset0:152 offset1:220
	ds_read2_b64 v[20:23], v11 offset0:32 offset1:100
	;; [unrolled: 1-line block ×3, first 2 shown]
	s_waitcnt lgkmcnt(4)
	v_pk_mul_f32 v[28:29], v[68:69], v[2:3]
	s_mov_b32 s0, 0x3e9e377a
	v_pk_fma_f32 v[32:33], v[94:95], v[2:3], v[28:29] op_sel:[0,0,1] op_sel_hi:[1,1,0]
	v_pk_fma_f32 v[2:3], v[94:95], v[2:3], v[28:29] op_sel:[0,0,1] op_sel_hi:[1,1,0] neg_lo:[0,0,1] neg_hi:[0,0,1]
	ds_read2_b64 v[28:31], v11 offset0:168 offset1:236
	v_mov_b32_e32 v33, v3
	s_waitcnt lgkmcnt(3)
	v_pk_mul_f32 v[2:3], v[70:71], v[16:17]
	v_accvgpr_read_b32 v7, a41
	v_pk_fma_f32 v[34:35], v[92:93], v[16:17], v[2:3] op_sel:[0,0,1] op_sel_hi:[1,1,0]
	v_pk_fma_f32 v[2:3], v[92:93], v[16:17], v[2:3] op_sel:[0,0,1] op_sel_hi:[1,1,0] neg_lo:[0,0,1] neg_hi:[0,0,1]
	v_add_u32_e32 v7, 0x1200, v7
	v_mov_b32_e32 v35, v3
	s_waitcnt lgkmcnt(2)
	v_pk_mul_f32 v[2:3], v[64:65], v[22:23]
	s_nop 0
	v_pk_fma_f32 v[16:17], v[90:91], v[22:23], v[2:3] op_sel:[0,0,1] op_sel_hi:[1,1,0]
	v_pk_fma_f32 v[2:3], v[90:91], v[22:23], v[2:3] op_sel:[0,0,1] op_sel_hi:[1,1,0] neg_lo:[0,0,1] neg_hi:[0,0,1]
	s_nop 0
	v_mov_b32_e32 v17, v3
	s_waitcnt lgkmcnt(1)
	v_pk_mul_f32 v[2:3], v[66:67], v[24:25]
	s_nop 0
	v_pk_fma_f32 v[36:37], v[88:89], v[24:25], v[2:3] op_sel:[0,0,1] op_sel_hi:[1,1,0]
	v_pk_fma_f32 v[2:3], v[88:89], v[24:25], v[2:3] op_sel:[0,0,1] op_sel_hi:[1,1,0] neg_lo:[0,0,1] neg_hi:[0,0,1]
	ds_read2_b64 v[22:25], v10 offset0:16 offset1:84
	v_mov_b32_e32 v37, v3
	v_pk_add_f32 v[2:3], v[12:13], v[32:33]
	s_waitcnt lgkmcnt(0)
	v_pk_mul_f32 v[38:39], v[60:61], v[22:23]
	s_nop 0
	v_pk_fma_f32 v[40:41], v[86:87], v[22:23], v[38:39] op_sel:[0,0,1] op_sel_hi:[1,1,0]
	v_pk_fma_f32 v[22:23], v[86:87], v[22:23], v[38:39] op_sel:[0,0,1] op_sel_hi:[1,1,0] neg_lo:[0,0,1] neg_hi:[0,0,1]
	v_pk_mul_f32 v[42:43], v[52:53], v[24:25]
	v_mov_b32_e32 v41, v23
	v_pk_mul_f32 v[22:23], v[62:63], v[18:19]
	v_pk_fma_f32 v[44:45], v[78:79], v[24:25], v[42:43] op_sel:[0,0,1] op_sel_hi:[1,1,0]
	v_pk_fma_f32 v[38:39], v[84:85], v[18:19], v[22:23] op_sel:[0,0,1] op_sel_hi:[1,1,0]
	v_pk_fma_f32 v[18:19], v[84:85], v[18:19], v[22:23] op_sel:[0,0,1] op_sel_hi:[1,1,0] neg_lo:[0,0,1] neg_hi:[0,0,1]
	v_pk_fma_f32 v[24:25], v[78:79], v[24:25], v[42:43] op_sel:[0,0,1] op_sel_hi:[1,1,0] neg_lo:[0,0,1] neg_hi:[0,0,1]
	v_mov_b32_e32 v39, v19
	v_pk_mul_f32 v[18:19], v[56:57], v[28:29]
	v_mov_b32_e32 v45, v25
	v_pk_fma_f32 v[22:23], v[82:83], v[28:29], v[18:19] op_sel:[0,0,1] op_sel_hi:[1,1,0]
	v_pk_fma_f32 v[18:19], v[82:83], v[28:29], v[18:19] op_sel:[0,0,1] op_sel_hi:[1,1,0] neg_lo:[0,0,1] neg_hi:[0,0,1]
	v_pk_mul_f32 v[24:25], v[54:55], v[20:21]
	v_mov_b32_e32 v23, v19
	v_pk_mul_f32 v[18:19], v[58:59], v[26:27]
	v_pk_fma_f32 v[42:43], v[76:77], v[20:21], v[24:25] op_sel:[0,0,1] op_sel_hi:[1,1,0]
	v_pk_fma_f32 v[28:29], v[80:81], v[26:27], v[18:19] op_sel:[0,0,1] op_sel_hi:[1,1,0]
	v_pk_fma_f32 v[18:19], v[80:81], v[26:27], v[18:19] op_sel:[0,0,1] op_sel_hi:[1,1,0] neg_lo:[0,0,1] neg_hi:[0,0,1]
	ds_read_b64 v[26:27], v131 offset:7616
	v_pk_fma_f32 v[20:21], v[76:77], v[20:21], v[24:25] op_sel:[0,0,1] op_sel_hi:[1,1,0] neg_lo:[0,0,1] neg_hi:[0,0,1]
	v_pk_add_f32 v[2:3], v[2:3], v[34:35]
	v_mov_b32_e32 v43, v21
	v_pk_mul_f32 v[20:21], v[48:49], v[30:31]
	v_pk_add_f32 v[2:3], v[2:3], v[16:17]
	v_pk_fma_f32 v[24:25], v[74:75], v[30:31], v[20:21] op_sel:[0,0,1] op_sel_hi:[1,1,0]
	v_pk_fma_f32 v[20:21], v[74:75], v[30:31], v[20:21] op_sel:[0,0,1] op_sel_hi:[1,1,0] neg_lo:[0,0,1] neg_hi:[0,0,1]
	v_pk_add_f32 v[2:3], v[2:3], v[36:37]
	v_mov_b32_e32 v25, v21
	s_waitcnt lgkmcnt(0)
	v_pk_mul_f32 v[20:21], v[50:51], v[26:27]
	ds_write_b64 v131, v[2:3]
	v_pk_fma_f32 v[30:31], v[72:73], v[26:27], v[20:21] op_sel:[0,0,1] op_sel_hi:[1,1,0]
	v_pk_fma_f32 v[20:21], v[72:73], v[26:27], v[20:21] op_sel:[0,0,1] op_sel_hi:[1,1,0] neg_lo:[0,0,1] neg_hi:[0,0,1]
	v_pk_add_f32 v[2:3], v[34:35], v[16:17]
	v_pk_add_f32 v[26:27], v[32:33], v[36:37] neg_lo:[0,1] neg_hi:[0,1]
	v_pk_fma_f32 v[2:3], v[2:3], 0.5, v[12:13] op_sel_hi:[1,0,1] neg_lo:[1,0,0] neg_hi:[1,0,0]
	v_pk_mul_f32 v[46:47], v[26:27], s[2:3] op_sel_hi:[1,0]
	v_pk_add_f32 v[48:49], v[34:35], v[16:17] neg_lo:[0,1] neg_hi:[0,1]
	v_pk_add_f32 v[52:53], v[32:33], v[34:35] neg_lo:[0,1] neg_hi:[0,1]
	;; [unrolled: 1-line block ×3, first 2 shown]
	v_pk_mul_f32 v[50:51], v[48:49], s[6:7] op_sel_hi:[1,0]
	v_pk_add_f32 v[52:53], v[52:53], v[54:55]
	v_pk_add_f32 v[54:55], v[2:3], v[46:47] op_sel:[0,1] op_sel_hi:[1,0] neg_lo:[0,1] neg_hi:[0,1]
	v_pk_add_f32 v[2:3], v[2:3], v[46:47] op_sel:[0,1] op_sel_hi:[1,0]
	v_pk_add_f32 v[46:47], v[54:55], v[50:51] op_sel:[0,1] op_sel_hi:[1,0] neg_lo:[0,1] neg_hi:[0,1]
	v_pk_add_f32 v[54:55], v[32:33], v[36:37]
	v_pk_add_f32 v[32:33], v[34:35], v[32:33] neg_lo:[0,1] neg_hi:[0,1]
	v_pk_add_f32 v[16:17], v[16:17], v[36:37] neg_lo:[0,1] neg_hi:[0,1]
	v_pk_fma_f32 v[12:13], v[54:55], 0.5, v[12:13] op_sel_hi:[1,0,1] neg_lo:[1,0,0] neg_hi:[1,0,0]
	v_pk_add_f32 v[16:17], v[32:33], v[16:17]
	v_pk_mul_f32 v[32:33], v[48:49], s[2:3] op_sel_hi:[1,0]
	v_pk_mul_f32 v[26:27], v[26:27], s[6:7] op_sel_hi:[1,0]
	v_pk_add_f32 v[34:35], v[12:13], v[32:33] op_sel:[0,1] op_sel_hi:[1,0]
	v_pk_add_f32 v[12:13], v[12:13], v[32:33] op_sel:[0,1] op_sel_hi:[1,0] neg_lo:[0,1] neg_hi:[0,1]
	v_pk_add_f32 v[2:3], v[2:3], v[50:51] op_sel:[0,1] op_sel_hi:[1,0]
	v_pk_add_f32 v[12:13], v[12:13], v[26:27] op_sel:[0,1] op_sel_hi:[1,0]
	v_pk_add_f32 v[26:27], v[34:35], v[26:27] op_sel:[0,1] op_sel_hi:[1,0] neg_lo:[0,1] neg_hi:[0,1]
	v_mov_b32_e32 v50, v46
	v_mov_b32_e32 v51, v3
	;; [unrolled: 1-line block ×4, first 2 shown]
	v_pk_fma_f32 v[50:51], v[52:53], s[0:1], v[50:51] op_sel_hi:[1,0,1]
	v_pk_fma_f32 v[32:33], v[16:17], s[0:1], v[32:33] op_sel_hi:[1,0,1]
	v_add_u32_e32 v3, 0x600, v131
	ds_write2_b64 v3, v[50:51], v[32:33] offset0:12 offset1:216
	v_mov_b32_e32 v13, v27
	v_mov_b32_e32 v3, v47
	;; [unrolled: 1-line block ×3, first 2 shown]
	v_pk_fma_f32 v[12:13], v[16:17], s[0:1], v[12:13] op_sel_hi:[1,0,1]
	v_pk_fma_f32 v[2:3], v[52:53], s[0:1], v[2:3] op_sel_hi:[1,0,1]
	ds_write2_b64 v7, v[12:13], v[2:3] offset0:36 offset1:240
	v_pk_add_f32 v[2:3], v[38:39], v[22:23]
	v_pk_add_f32 v[12:13], v[40:41], v[28:29] neg_lo:[0,1] neg_hi:[0,1]
	v_pk_fma_f32 v[2:3], v[2:3], 0.5, v[14:15] op_sel_hi:[1,0,1] neg_lo:[1,0,0] neg_hi:[1,0,0]
	v_pk_mul_f32 v[16:17], v[12:13], s[2:3] op_sel_hi:[1,0]
	v_pk_add_f32 v[26:27], v[38:39], v[22:23] neg_lo:[0,1] neg_hi:[0,1]
	v_pk_add_f32 v[34:35], v[40:41], v[38:39] neg_lo:[0,1] neg_hi:[0,1]
	v_pk_add_f32 v[36:37], v[28:29], v[22:23] neg_lo:[0,1] neg_hi:[0,1]
	v_pk_add_f32 v[18:19], v[14:15], v[40:41]
	v_pk_mul_f32 v[32:33], v[26:27], s[6:7] op_sel_hi:[1,0]
	v_pk_add_f32 v[34:35], v[34:35], v[36:37]
	v_pk_add_f32 v[36:37], v[2:3], v[16:17] op_sel:[0,1] op_sel_hi:[1,0] neg_lo:[0,1] neg_hi:[0,1]
	v_pk_add_f32 v[18:19], v[18:19], v[38:39]
	v_pk_add_f32 v[2:3], v[2:3], v[16:17] op_sel:[0,1] op_sel_hi:[1,0]
	v_pk_add_f32 v[16:17], v[36:37], v[32:33] op_sel:[0,1] op_sel_hi:[1,0] neg_lo:[0,1] neg_hi:[0,1]
	v_pk_add_f32 v[36:37], v[40:41], v[28:29]
	v_pk_add_f32 v[18:19], v[18:19], v[22:23]
	v_pk_fma_f32 v[14:15], v[36:37], 0.5, v[14:15] op_sel_hi:[1,0,1] neg_lo:[1,0,0] neg_hi:[1,0,0]
	v_pk_mul_f32 v[26:27], v[26:27], s[2:3] op_sel_hi:[1,0]
	v_pk_add_f32 v[18:19], v[18:19], v[28:29]
	v_pk_add_f32 v[22:23], v[22:23], v[28:29] neg_lo:[0,1] neg_hi:[0,1]
	v_pk_mul_f32 v[12:13], v[12:13], s[6:7] op_sel_hi:[1,0]
	v_pk_add_f32 v[28:29], v[14:15], v[26:27] op_sel:[0,1] op_sel_hi:[1,0]
	v_pk_add_f32 v[14:15], v[14:15], v[26:27] op_sel:[0,1] op_sel_hi:[1,0] neg_lo:[0,1] neg_hi:[0,1]
	v_pk_add_f32 v[2:3], v[2:3], v[32:33] op_sel:[0,1] op_sel_hi:[1,0]
	v_pk_add_f32 v[36:37], v[38:39], v[40:41] neg_lo:[0,1] neg_hi:[0,1]
	v_pk_add_f32 v[14:15], v[14:15], v[12:13] op_sel:[0,1] op_sel_hi:[1,0]
	v_pk_add_f32 v[12:13], v[28:29], v[12:13] op_sel:[0,1] op_sel_hi:[1,0] neg_lo:[0,1] neg_hi:[0,1]
	v_mov_b32_e32 v32, v16
	v_mov_b32_e32 v33, v3
	v_pk_add_f32 v[22:23], v[36:37], v[22:23]
	v_mov_b32_e32 v26, v12
	v_mov_b32_e32 v27, v15
	;; [unrolled: 1-line block ×3, first 2 shown]
	v_pk_add_f32 v[20:21], v[0:1], v[44:45]
	v_pk_fma_f32 v[32:33], v[34:35], s[0:1], v[32:33] op_sel_hi:[1,0,1]
	v_pk_fma_f32 v[26:27], v[22:23], s[0:1], v[26:27] op_sel_hi:[1,0,1]
	v_add_u32_e32 v3, 0x600, v176
	v_pk_add_f32 v[20:21], v[20:21], v[42:43]
	ds_write2_b64 v3, v[32:33], v[26:27] offset0:12 offset1:216
	v_mov_b32_e32 v15, v13
	v_mov_b32_e32 v3, v17
	v_pk_add_f32 v[20:21], v[20:21], v[24:25]
	v_pk_fma_f32 v[12:13], v[22:23], s[0:1], v[14:15] op_sel_hi:[1,0,1]
	v_pk_fma_f32 v[2:3], v[34:35], s[0:1], v[2:3] op_sel_hi:[1,0,1]
	v_add_u32_e32 v7, 0x1200, v176
	v_pk_add_f32 v[20:21], v[20:21], v[30:31]
	ds_write2_b64 v7, v[12:13], v[2:3] offset0:36 offset1:240
	ds_write2_b64 v131, v[18:19], v[20:21] offset0:68 offset1:136
	v_pk_add_f32 v[2:3], v[42:43], v[24:25]
	v_pk_add_f32 v[12:13], v[44:45], v[30:31] neg_lo:[0,1] neg_hi:[0,1]
	v_pk_fma_f32 v[2:3], v[2:3], 0.5, v[0:1] op_sel_hi:[1,0,1] neg_lo:[1,0,0] neg_hi:[1,0,0]
	v_pk_mul_f32 v[14:15], v[12:13], s[2:3] op_sel_hi:[1,0]
	v_pk_add_f32 v[16:17], v[42:43], v[24:25] neg_lo:[0,1] neg_hi:[0,1]
	v_pk_add_f32 v[20:21], v[44:45], v[42:43] neg_lo:[0,1] neg_hi:[0,1]
	;; [unrolled: 1-line block ×3, first 2 shown]
	v_pk_mul_f32 v[18:19], v[16:17], s[6:7] op_sel_hi:[1,0]
	v_pk_add_f32 v[20:21], v[20:21], v[22:23]
	v_pk_add_f32 v[22:23], v[2:3], v[14:15] op_sel:[0,1] op_sel_hi:[1,0] neg_lo:[0,1] neg_hi:[0,1]
	v_pk_add_f32 v[2:3], v[2:3], v[14:15] op_sel:[0,1] op_sel_hi:[1,0]
	v_pk_add_f32 v[14:15], v[22:23], v[18:19] op_sel:[0,1] op_sel_hi:[1,0] neg_lo:[0,1] neg_hi:[0,1]
	v_pk_add_f32 v[22:23], v[44:45], v[30:31]
	v_pk_add_f32 v[24:25], v[24:25], v[30:31] neg_lo:[0,1] neg_hi:[0,1]
	v_pk_fma_f32 v[0:1], v[22:23], 0.5, v[0:1] op_sel_hi:[1,0,1] neg_lo:[1,0,0] neg_hi:[1,0,0]
	v_pk_add_f32 v[22:23], v[42:43], v[44:45] neg_lo:[0,1] neg_hi:[0,1]
	v_pk_mul_f32 v[16:17], v[16:17], s[2:3] op_sel_hi:[1,0]
	v_pk_add_f32 v[22:23], v[22:23], v[24:25]
	v_pk_mul_f32 v[12:13], v[12:13], s[6:7] op_sel_hi:[1,0]
	v_pk_add_f32 v[24:25], v[0:1], v[16:17] op_sel:[0,1] op_sel_hi:[1,0]
	v_pk_add_f32 v[0:1], v[0:1], v[16:17] op_sel:[0,1] op_sel_hi:[1,0] neg_lo:[0,1] neg_hi:[0,1]
	v_pk_add_f32 v[2:3], v[2:3], v[18:19] op_sel:[0,1] op_sel_hi:[1,0]
	v_pk_add_f32 v[0:1], v[0:1], v[12:13] op_sel:[0,1] op_sel_hi:[1,0]
	v_pk_add_f32 v[12:13], v[24:25], v[12:13] op_sel:[0,1] op_sel_hi:[1,0] neg_lo:[0,1] neg_hi:[0,1]
	v_mov_b32_e32 v18, v14
	v_mov_b32_e32 v19, v3
	;; [unrolled: 1-line block ×4, first 2 shown]
	v_pk_fma_f32 v[18:19], v[20:21], s[0:1], v[18:19] op_sel_hi:[1,0,1]
	v_pk_fma_f32 v[16:17], v[22:23], s[0:1], v[16:17] op_sel_hi:[1,0,1]
	v_add_u32_e32 v1, 0x600, v108
	ds_write2_b64 v1, v[18:19], v[16:17] offset0:12 offset1:216
	v_mov_b32_e32 v1, v13
	v_mov_b32_e32 v3, v15
	v_pk_fma_f32 v[0:1], v[22:23], s[0:1], v[0:1] op_sel_hi:[1,0,1]
	v_pk_fma_f32 v[2:3], v[20:21], s[0:1], v[2:3] op_sel_hi:[1,0,1]
	v_add_u32_e32 v7, 0x1200, v108
	ds_write2_b64 v7, v[0:1], v[2:3] offset0:36 offset1:240
	s_waitcnt lgkmcnt(0)
	s_barrier
	ds_read2_b64 v[0:3], v131 offset1:68
	v_accvgpr_read_b32 v14, a28
	v_accvgpr_read_b32 v15, a29
	v_mad_u64_u32 v[12:13], s[0:1], s11, v130, v[8:9]
	s_waitcnt lgkmcnt(0)
	v_mul_f32_e32 v8, v15, v1
	v_fmac_f32_e32 v8, v14, v0
	s_mov_b32 s0, 0x10101010
	v_mul_f32_e32 v0, v15, v0
	v_mov_b32_e32 v7, v12
	v_cvt_f64_f32_e32 v[12:13], v8
	s_mov_b32 s1, 0x3f501010
	v_fma_f32 v0, v14, v1, -v0
	v_mul_f64 v[12:13], v[12:13], s[0:1]
	v_cvt_f64_f32_e32 v[0:1], v0
	v_cvt_f32_f64_e32 v16, v[12:13]
	v_mul_f64 v[0:1], v[0:1], s[0:1]
	ds_read2_b64 v[12:15], v10 offset0:152 offset1:254
	v_cvt_f32_f64_e32 v17, v[0:1]
	v_mad_u64_u32 v[0:1], s[2:3], s8, v138, 0
	v_mov_b32_e32 v8, v1
	v_mad_u64_u32 v[18:19], s[2:3], s9, v138, v[8:9]
	v_lshl_add_u64 v[4:5], v[6:7], 3, v[4:5]
	v_accvgpr_read_b32 v6, a26
	v_mov_b32_e32 v1, v18
	v_accvgpr_read_b32 v7, a27
	v_lshl_add_u64 v[0:1], v[0:1], 3, v[4:5]
	s_waitcnt lgkmcnt(0)
	v_mul_f32_e32 v4, v7, v15
	v_fmac_f32_e32 v4, v6, v14
	v_cvt_f64_f32_e32 v[4:5], v4
	v_mul_f64 v[4:5], v[4:5], s[0:1]
	v_cvt_f32_f64_e32 v4, v[4:5]
	v_mul_f32_e32 v5, v7, v14
	v_fma_f32 v5, v6, v15, -v5
	s_mul_i32 s2, s9, 0x1fe
	s_mul_hi_u32 s3, s8, 0x1fe
	v_cvt_f64_f32_e32 v[6:7], v5
	s_add_i32 s3, s3, s2
	s_mul_i32 s2, s8, 0x1fe
	v_accvgpr_read_b32 v14, a24
	v_mul_f64 v[6:7], v[6:7], s[0:1]
	s_lshl_b64 s[10:11], s[2:3], 3
	v_accvgpr_read_b32 v15, a25
	global_store_dwordx2 v[0:1], v[16:17], off
	v_cvt_f32_f64_e32 v5, v[6:7]
	v_lshl_add_u64 v[6:7], v[0:1], 0, s[10:11]
	v_mul_f32_e32 v0, v15, v3
	v_fmac_f32_e32 v0, v14, v2
	v_cvt_f64_f32_e32 v[0:1], v0
	v_mul_f64 v[0:1], v[0:1], s[0:1]
	global_store_dwordx2 v[6:7], v[4:5], off
	v_cvt_f32_f64_e32 v4, v[0:1]
	v_mul_f32_e32 v0, v15, v2
	v_fma_f32 v0, v14, v3, -v0
	v_cvt_f64_f32_e32 v[0:1], v0
	v_mul_f64 v[0:1], v[0:1], s[0:1]
	s_mul_hi_u32 s7, s8, 0xfffffe46
	v_cvt_f32_f64_e32 v5, v[0:1]
	s_mul_i32 s6, s9, 0xfffffe46
	s_sub_i32 s7, s7, s8
	ds_read2_b64 v[0:3], v11 offset0:66 offset1:134
	s_add_i32 s7, s7, s6
	s_mul_i32 s6, s8, 0xfffffe46
	s_lshl_b64 s[8:9], s[6:7], 3
	v_lshl_add_u64 v[14:15], v[6:7], 0, s[8:9]
	v_accvgpr_read_b32 v6, a22
	v_accvgpr_read_b32 v7, a23
	global_store_dwordx2 v[14:15], v[4:5], off
	s_waitcnt lgkmcnt(0)
	v_mul_f32_e32 v4, v7, v1
	v_fmac_f32_e32 v4, v6, v0
	v_cvt_f64_f32_e32 v[4:5], v4
	v_mul_f32_e32 v0, v7, v0
	v_mul_f64 v[4:5], v[4:5], s[0:1]
	v_fma_f32 v0, v6, v1, -v0
	v_cvt_f32_f64_e32 v16, v[4:5]
	v_cvt_f64_f32_e32 v[0:1], v0
	ds_read2_b64 v[4:7], v131 offset0:136 offset1:204
	v_mul_f64 v[0:1], v[0:1], s[0:1]
	v_cvt_f32_f64_e32 v17, v[0:1]
	v_lshl_add_u64 v[0:1], v[14:15], 0, s[10:11]
	global_store_dwordx2 v[0:1], v[16:17], off
	v_accvgpr_read_b32 v16, a20
	v_accvgpr_read_b32 v17, a21
	s_waitcnt lgkmcnt(0)
	v_mul_f32_e32 v8, v17, v5
	v_fmac_f32_e32 v8, v16, v4
	v_mul_f32_e32 v4, v17, v4
	v_fma_f32 v4, v16, v5, -v4
	v_cvt_f64_f32_e32 v[14:15], v8
	v_cvt_f64_f32_e32 v[4:5], v4
	v_mul_f64 v[14:15], v[14:15], s[0:1]
	v_mul_f64 v[4:5], v[4:5], s[0:1]
	v_cvt_f32_f64_e32 v14, v[14:15]
	v_cvt_f32_f64_e32 v15, v[4:5]
	v_lshl_add_u64 v[0:1], v[0:1], 0, s[8:9]
	global_store_dwordx2 v[0:1], v[14:15], off
	v_accvgpr_read_b32 v14, a18
	v_accvgpr_read_b32 v15, a19
	v_mul_f32_e32 v4, v15, v3
	v_fmac_f32_e32 v4, v14, v2
	v_mul_f32_e32 v2, v15, v2
	v_fma_f32 v2, v14, v3, -v2
	v_cvt_f64_f32_e32 v[4:5], v4
	v_cvt_f64_f32_e32 v[2:3], v2
	v_mul_f64 v[4:5], v[4:5], s[0:1]
	v_mul_f64 v[2:3], v[2:3], s[0:1]
	v_cvt_f32_f64_e32 v4, v[4:5]
	v_cvt_f32_f64_e32 v5, v[2:3]
	v_accvgpr_read_b32 v2, a16
	v_accvgpr_read_b32 v3, a17
	v_lshl_add_u64 v[14:15], v[0:1], 0, s[10:11]
	v_mul_f32_e32 v0, v3, v7
	v_fmac_f32_e32 v0, v2, v6
	v_cvt_f64_f32_e32 v[0:1], v0
	v_mul_f64 v[0:1], v[0:1], s[0:1]
	global_store_dwordx2 v[14:15], v[4:5], off
	v_cvt_f32_f64_e32 v4, v[0:1]
	v_mul_f32_e32 v0, v3, v6
	v_fma_f32 v0, v2, v7, -v0
	v_cvt_f64_f32_e32 v[6:7], v0
	v_add_u32_e32 v0, 0x1400, v131
	ds_read2_b64 v[0:3], v0 offset0:74 offset1:142
	v_mul_f64 v[6:7], v[6:7], s[0:1]
	v_cvt_f32_f64_e32 v5, v[6:7]
	v_lshl_add_u64 v[14:15], v[14:15], 0, s[8:9]
	global_store_dwordx2 v[14:15], v[4:5], off
	s_waitcnt lgkmcnt(0)
	v_mul_f32_e32 v4, v141, v1
	v_fmac_f32_e32 v4, v140, v0
	v_cvt_f64_f32_e32 v[4:5], v4
	v_mul_f64 v[4:5], v[4:5], s[0:1]
	v_cvt_f32_f64_e32 v16, v[4:5]
	ds_read2_b64 v[4:7], v10 offset0:16 offset1:84
	v_mul_f32_e32 v0, v141, v0
	v_fma_f32 v0, v140, v1, -v0
	v_cvt_f64_f32_e32 v[0:1], v0
	v_mul_f64 v[0:1], v[0:1], s[0:1]
	s_waitcnt lgkmcnt(0)
	v_mul_f32_e32 v8, v137, v5
	v_fmac_f32_e32 v8, v136, v4
	v_mul_f32_e32 v4, v137, v4
	v_fma_f32 v4, v136, v5, -v4
	v_cvt_f64_f32_e32 v[10:11], v8
	v_cvt_f64_f32_e32 v[4:5], v4
	v_mul_f64 v[10:11], v[10:11], s[0:1]
	v_mul_f64 v[4:5], v[4:5], s[0:1]
	v_cvt_f32_f64_e32 v17, v[0:1]
	v_lshl_add_u64 v[0:1], v[14:15], 0, s[10:11]
	v_cvt_f32_f64_e32 v10, v[10:11]
	v_cvt_f32_f64_e32 v11, v[4:5]
	v_mul_f32_e32 v4, v135, v3
	global_store_dwordx2 v[0:1], v[16:17], off
	v_lshl_add_u64 v[0:1], v[0:1], 0, s[8:9]
	v_fmac_f32_e32 v4, v134, v2
	v_mul_f32_e32 v2, v135, v2
	global_store_dwordx2 v[0:1], v[10:11], off
	v_fma_f32 v2, v134, v3, -v2
	v_lshl_add_u64 v[10:11], v[0:1], 0, s[10:11]
	v_mul_f32_e32 v0, v133, v7
	v_cvt_f64_f32_e32 v[4:5], v4
	v_cvt_f64_f32_e32 v[2:3], v2
	v_fmac_f32_e32 v0, v132, v6
	v_mul_f64 v[4:5], v[4:5], s[0:1]
	v_mul_f64 v[2:3], v[2:3], s[0:1]
	v_cvt_f64_f32_e32 v[0:1], v0
	v_cvt_f32_f64_e32 v4, v[4:5]
	v_cvt_f32_f64_e32 v5, v[2:3]
	v_mul_f64 v[0:1], v[0:1], s[0:1]
	global_store_dwordx2 v[10:11], v[4:5], off
	v_cvt_f32_f64_e32 v4, v[0:1]
	v_mul_f32_e32 v0, v133, v6
	v_fma_f32 v0, v132, v7, -v0
	v_cvt_f64_f32_e32 v[6:7], v0
	ds_read2_b64 v[0:3], v9 offset0:82 offset1:150
	v_mul_f64 v[6:7], v[6:7], s[0:1]
	v_cvt_f32_f64_e32 v5, v[6:7]
	v_lshl_add_u64 v[6:7], v[10:11], 0, s[8:9]
	global_store_dwordx2 v[6:7], v[4:5], off
	s_waitcnt lgkmcnt(0)
	v_mul_f32_e32 v4, v129, v1
	v_fmac_f32_e32 v4, v128, v0
	v_mul_f32_e32 v0, v129, v0
	v_fma_f32 v0, v128, v1, -v0
	v_cvt_f64_f32_e32 v[4:5], v4
	v_cvt_f64_f32_e32 v[0:1], v0
	v_mul_f64 v[4:5], v[4:5], s[0:1]
	v_mul_f64 v[0:1], v[0:1], s[0:1]
	v_cvt_f32_f64_e32 v4, v[4:5]
	v_cvt_f32_f64_e32 v5, v[0:1]
	v_lshl_add_u64 v[0:1], v[6:7], 0, s[10:11]
	global_store_dwordx2 v[0:1], v[4:5], off
	v_mul_f32_e32 v4, v127, v13
	v_fmac_f32_e32 v4, v126, v12
	v_cvt_f64_f32_e32 v[4:5], v4
	v_mul_f64 v[4:5], v[4:5], s[0:1]
	v_cvt_f32_f64_e32 v4, v[4:5]
	v_mul_f32_e32 v5, v127, v12
	v_fma_f32 v5, v126, v13, -v5
	v_cvt_f64_f32_e32 v[6:7], v5
	v_mul_f64 v[6:7], v[6:7], s[0:1]
	v_cvt_f32_f64_e32 v5, v[6:7]
	v_lshl_add_u64 v[0:1], v[0:1], 0, s[8:9]
	global_store_dwordx2 v[0:1], v[4:5], off
	v_mul_f32_e32 v4, v125, v3
	v_fmac_f32_e32 v4, v124, v2
	v_mul_f32_e32 v2, v125, v2
	v_fma_f32 v2, v124, v3, -v2
	v_cvt_f64_f32_e32 v[4:5], v4
	v_cvt_f64_f32_e32 v[2:3], v2
	v_mul_f64 v[4:5], v[4:5], s[0:1]
	v_mul_f64 v[2:3], v[2:3], s[0:1]
	v_cvt_f32_f64_e32 v4, v[4:5]
	v_cvt_f32_f64_e32 v5, v[2:3]
	v_lshl_add_u64 v[0:1], v[0:1], 0, s[10:11]
	global_store_dwordx2 v[0:1], v[4:5], off
	s_and_b64 exec, exec, s[4:5]
	s_cbranch_execz .LBB0_31
; %bb.30:
	global_load_dwordx2 v[2:3], v[122:123], off offset:3808
	ds_read_b64 v[4:5], v131 offset:3808
	ds_read_b64 v[6:7], v131 offset:7888
	v_lshl_add_u64 v[0:1], s[6:7], 3, v[0:1]
	v_add_co_u32_e32 v8, vcc, s12, v122
	s_waitcnt vmcnt(0) lgkmcnt(1)
	v_mul_f32_e32 v10, v5, v3
	v_mul_f32_e32 v3, v4, v3
	v_fmac_f32_e32 v10, v4, v2
	v_fma_f32 v4, v2, v5, -v3
	v_cvt_f64_f32_e32 v[2:3], v10
	v_cvt_f64_f32_e32 v[4:5], v4
	v_mul_f64 v[2:3], v[2:3], s[0:1]
	v_mul_f64 v[4:5], v[4:5], s[0:1]
	v_cvt_f32_f64_e32 v2, v[2:3]
	v_cvt_f32_f64_e32 v3, v[4:5]
	v_addc_co_u32_e32 v9, vcc, 0, v123, vcc
	global_store_dwordx2 v[0:1], v[2:3], off
	global_load_dwordx2 v[2:3], v[8:9], off offset:3792
	v_lshl_add_u64 v[0:1], s[2:3], 3, v[0:1]
	s_waitcnt vmcnt(0) lgkmcnt(0)
	v_mul_f32_e32 v4, v7, v3
	v_mul_f32_e32 v3, v6, v3
	v_fmac_f32_e32 v4, v6, v2
	v_fma_f32 v5, v2, v7, -v3
	v_cvt_f64_f32_e32 v[2:3], v4
	v_cvt_f64_f32_e32 v[4:5], v5
	v_mul_f64 v[2:3], v[2:3], s[0:1]
	v_mul_f64 v[4:5], v[4:5], s[0:1]
	v_cvt_f32_f64_e32 v2, v[2:3]
	v_cvt_f32_f64_e32 v3, v[4:5]
	global_store_dwordx2 v[0:1], v[2:3], off
.LBB0_31:
	s_endpgm
	.section	.rodata,"a",@progbits
	.p2align	6, 0x0
	.amdhsa_kernel bluestein_single_back_len1020_dim1_sp_op_CI_CI
		.amdhsa_group_segment_fixed_size 24480
		.amdhsa_private_segment_fixed_size 0
		.amdhsa_kernarg_size 104
		.amdhsa_user_sgpr_count 2
		.amdhsa_user_sgpr_dispatch_ptr 0
		.amdhsa_user_sgpr_queue_ptr 0
		.amdhsa_user_sgpr_kernarg_segment_ptr 1
		.amdhsa_user_sgpr_dispatch_id 0
		.amdhsa_user_sgpr_kernarg_preload_length 0
		.amdhsa_user_sgpr_kernarg_preload_offset 0
		.amdhsa_user_sgpr_private_segment_size 0
		.amdhsa_uses_dynamic_stack 0
		.amdhsa_enable_private_segment 0
		.amdhsa_system_sgpr_workgroup_id_x 1
		.amdhsa_system_sgpr_workgroup_id_y 0
		.amdhsa_system_sgpr_workgroup_id_z 0
		.amdhsa_system_sgpr_workgroup_info 0
		.amdhsa_system_vgpr_workitem_id 0
		.amdhsa_next_free_vgpr 308
		.amdhsa_next_free_sgpr 74
		.amdhsa_accum_offset 256
		.amdhsa_reserve_vcc 1
		.amdhsa_float_round_mode_32 0
		.amdhsa_float_round_mode_16_64 0
		.amdhsa_float_denorm_mode_32 3
		.amdhsa_float_denorm_mode_16_64 3
		.amdhsa_dx10_clamp 1
		.amdhsa_ieee_mode 1
		.amdhsa_fp16_overflow 0
		.amdhsa_tg_split 0
		.amdhsa_exception_fp_ieee_invalid_op 0
		.amdhsa_exception_fp_denorm_src 0
		.amdhsa_exception_fp_ieee_div_zero 0
		.amdhsa_exception_fp_ieee_overflow 0
		.amdhsa_exception_fp_ieee_underflow 0
		.amdhsa_exception_fp_ieee_inexact 0
		.amdhsa_exception_int_div_zero 0
	.end_amdhsa_kernel
	.text
.Lfunc_end0:
	.size	bluestein_single_back_len1020_dim1_sp_op_CI_CI, .Lfunc_end0-bluestein_single_back_len1020_dim1_sp_op_CI_CI
                                        ; -- End function
	.section	.AMDGPU.csdata,"",@progbits
; Kernel info:
; codeLenInByte = 22164
; NumSgprs: 80
; NumVgprs: 256
; NumAgprs: 52
; TotalNumVgprs: 308
; ScratchSize: 0
; MemoryBound: 0
; FloatMode: 240
; IeeeMode: 1
; LDSByteSize: 24480 bytes/workgroup (compile time only)
; SGPRBlocks: 9
; VGPRBlocks: 38
; NumSGPRsForWavesPerEU: 80
; NumVGPRsForWavesPerEU: 308
; AccumOffset: 256
; Occupancy: 1
; WaveLimiterHint : 1
; COMPUTE_PGM_RSRC2:SCRATCH_EN: 0
; COMPUTE_PGM_RSRC2:USER_SGPR: 2
; COMPUTE_PGM_RSRC2:TRAP_HANDLER: 0
; COMPUTE_PGM_RSRC2:TGID_X_EN: 1
; COMPUTE_PGM_RSRC2:TGID_Y_EN: 0
; COMPUTE_PGM_RSRC2:TGID_Z_EN: 0
; COMPUTE_PGM_RSRC2:TIDIG_COMP_CNT: 0
; COMPUTE_PGM_RSRC3_GFX90A:ACCUM_OFFSET: 63
; COMPUTE_PGM_RSRC3_GFX90A:TG_SPLIT: 0
	.text
	.p2alignl 6, 3212836864
	.fill 256, 4, 3212836864
	.type	__hip_cuid_145d3201bfe715d0,@object ; @__hip_cuid_145d3201bfe715d0
	.section	.bss,"aw",@nobits
	.globl	__hip_cuid_145d3201bfe715d0
__hip_cuid_145d3201bfe715d0:
	.byte	0                               ; 0x0
	.size	__hip_cuid_145d3201bfe715d0, 1

	.ident	"AMD clang version 19.0.0git (https://github.com/RadeonOpenCompute/llvm-project roc-6.4.0 25133 c7fe45cf4b819c5991fe208aaa96edf142730f1d)"
	.section	".note.GNU-stack","",@progbits
	.addrsig
	.addrsig_sym __hip_cuid_145d3201bfe715d0
	.amdgpu_metadata
---
amdhsa.kernels:
  - .agpr_count:     52
    .args:
      - .actual_access:  read_only
        .address_space:  global
        .offset:         0
        .size:           8
        .value_kind:     global_buffer
      - .actual_access:  read_only
        .address_space:  global
        .offset:         8
        .size:           8
        .value_kind:     global_buffer
      - .actual_access:  read_only
        .address_space:  global
        .offset:         16
        .size:           8
        .value_kind:     global_buffer
      - .actual_access:  read_only
        .address_space:  global
        .offset:         24
        .size:           8
        .value_kind:     global_buffer
      - .actual_access:  read_only
        .address_space:  global
        .offset:         32
        .size:           8
        .value_kind:     global_buffer
      - .offset:         40
        .size:           8
        .value_kind:     by_value
      - .address_space:  global
        .offset:         48
        .size:           8
        .value_kind:     global_buffer
      - .address_space:  global
        .offset:         56
        .size:           8
        .value_kind:     global_buffer
      - .address_space:  global
        .offset:         64
        .size:           8
        .value_kind:     global_buffer
      - .address_space:  global
        .offset:         72
        .size:           8
        .value_kind:     global_buffer
      - .offset:         80
        .size:           4
        .value_kind:     by_value
      - .address_space:  global
        .offset:         88
        .size:           8
        .value_kind:     global_buffer
      - .address_space:  global
        .offset:         96
        .size:           8
        .value_kind:     global_buffer
    .group_segment_fixed_size: 24480
    .kernarg_segment_align: 8
    .kernarg_segment_size: 104
    .language:       OpenCL C
    .language_version:
      - 2
      - 0
    .max_flat_workgroup_size: 204
    .name:           bluestein_single_back_len1020_dim1_sp_op_CI_CI
    .private_segment_fixed_size: 0
    .sgpr_count:     80
    .sgpr_spill_count: 0
    .symbol:         bluestein_single_back_len1020_dim1_sp_op_CI_CI.kd
    .uniform_work_group_size: 1
    .uses_dynamic_stack: false
    .vgpr_count:     308
    .vgpr_spill_count: 0
    .wavefront_size: 64
amdhsa.target:   amdgcn-amd-amdhsa--gfx950
amdhsa.version:
  - 1
  - 2
...

	.end_amdgpu_metadata
